;; amdgpu-corpus repo=ROCm/rocFFT kind=compiled arch=gfx950 opt=O3
	.text
	.amdgcn_target "amdgcn-amd-amdhsa--gfx950"
	.amdhsa_code_object_version 6
	.protected	fft_rtc_back_len578_factors_17_17_2_wgs_238_tpt_34_halfLds_dp_op_CI_CI_unitstride_sbrr_dirReg ; -- Begin function fft_rtc_back_len578_factors_17_17_2_wgs_238_tpt_34_halfLds_dp_op_CI_CI_unitstride_sbrr_dirReg
	.globl	fft_rtc_back_len578_factors_17_17_2_wgs_238_tpt_34_halfLds_dp_op_CI_CI_unitstride_sbrr_dirReg
	.p2align	8
	.type	fft_rtc_back_len578_factors_17_17_2_wgs_238_tpt_34_halfLds_dp_op_CI_CI_unitstride_sbrr_dirReg,@function
fft_rtc_back_len578_factors_17_17_2_wgs_238_tpt_34_halfLds_dp_op_CI_CI_unitstride_sbrr_dirReg: ; @fft_rtc_back_len578_factors_17_17_2_wgs_238_tpt_34_halfLds_dp_op_CI_CI_unitstride_sbrr_dirReg
; %bb.0:
	s_load_dwordx4 s[8:11], s[0:1], 0x58
	s_load_dwordx4 s[4:7], s[0:1], 0x0
	;; [unrolled: 1-line block ×3, first 2 shown]
	v_mul_u32_u24_e32 v1, 0x788, v0
	v_lshrrev_b32_e32 v2, 16, v1
	v_mad_u64_u32 v[78:79], s[2:3], s2, 7, v[2:3]
	v_mov_b32_e32 v2, 0
	v_mov_b32_e32 v79, v2
	s_waitcnt lgkmcnt(0)
	v_cmp_lt_u64_e64 s[2:3], s[6:7], 2
	v_mov_b64_e32 v[4:5], 0
	s_and_b64 vcc, exec, s[2:3]
	v_mov_b64_e32 v[68:69], v[4:5]
	v_mov_b64_e32 v[72:73], v[78:79]
	s_cbranch_vccnz .LBB0_8
; %bb.1:
	s_load_dwordx2 s[2:3], s[0:1], 0x10
	s_add_u32 s16, s14, 8
	s_addc_u32 s17, s15, 0
	s_add_u32 s18, s12, 8
	s_addc_u32 s19, s13, 0
	s_waitcnt lgkmcnt(0)
	s_add_u32 s20, s2, 8
	v_mov_b64_e32 v[4:5], 0
	s_addc_u32 s21, s3, 0
	s_mov_b64 s[22:23], 1
	v_mov_b64_e32 v[68:69], v[4:5]
	v_mov_b64_e32 v[6:7], v[78:79]
.LBB0_2:                                ; =>This Inner Loop Header: Depth=1
	s_load_dwordx2 s[24:25], s[20:21], 0x0
                                        ; implicit-def: $vgpr72_vgpr73
	s_waitcnt lgkmcnt(0)
	v_or_b32_e32 v3, s25, v7
	v_cmp_ne_u64_e32 vcc, 0, v[2:3]
	s_and_saveexec_b64 s[2:3], vcc
	s_xor_b64 s[26:27], exec, s[2:3]
	s_cbranch_execz .LBB0_4
; %bb.3:                                ;   in Loop: Header=BB0_2 Depth=1
	v_cvt_f32_u32_e32 v1, s24
	v_cvt_f32_u32_e32 v3, s25
	s_sub_u32 s2, 0, s24
	s_subb_u32 s3, 0, s25
	v_fmac_f32_e32 v1, 0x4f800000, v3
	v_rcp_f32_e32 v1, v1
	s_nop 0
	v_mul_f32_e32 v1, 0x5f7ffffc, v1
	v_mul_f32_e32 v3, 0x2f800000, v1
	v_trunc_f32_e32 v3, v3
	v_fmac_f32_e32 v1, 0xcf800000, v3
	v_cvt_u32_f32_e32 v3, v3
	v_cvt_u32_f32_e32 v1, v1
	v_mul_lo_u32 v8, s2, v3
	v_mul_hi_u32 v10, s2, v1
	v_mul_lo_u32 v9, s3, v1
	v_add_u32_e32 v10, v10, v8
	v_mul_lo_u32 v12, s2, v1
	v_add_u32_e32 v13, v10, v9
	v_mul_hi_u32 v8, v1, v12
	v_mul_hi_u32 v11, v1, v13
	v_mul_lo_u32 v10, v1, v13
	v_mov_b32_e32 v9, v2
	v_lshl_add_u64 v[8:9], v[8:9], 0, v[10:11]
	v_mul_hi_u32 v11, v3, v12
	v_mul_lo_u32 v12, v3, v12
	v_add_co_u32_e32 v8, vcc, v8, v12
	v_mul_hi_u32 v10, v3, v13
	s_nop 0
	v_addc_co_u32_e32 v8, vcc, v9, v11, vcc
	v_mov_b32_e32 v9, v2
	s_nop 0
	v_addc_co_u32_e32 v11, vcc, 0, v10, vcc
	v_mul_lo_u32 v10, v3, v13
	v_lshl_add_u64 v[8:9], v[8:9], 0, v[10:11]
	v_add_co_u32_e32 v1, vcc, v1, v8
	v_mul_lo_u32 v10, s2, v1
	s_nop 0
	v_addc_co_u32_e32 v3, vcc, v3, v9, vcc
	v_mul_lo_u32 v8, s2, v3
	v_mul_hi_u32 v9, s2, v1
	v_add_u32_e32 v8, v9, v8
	v_mul_lo_u32 v9, s3, v1
	v_add_u32_e32 v12, v8, v9
	v_mul_hi_u32 v14, v3, v10
	v_mul_lo_u32 v15, v3, v10
	v_mul_hi_u32 v9, v1, v12
	v_mul_lo_u32 v8, v1, v12
	v_mul_hi_u32 v10, v1, v10
	v_mov_b32_e32 v11, v2
	v_lshl_add_u64 v[8:9], v[10:11], 0, v[8:9]
	v_add_co_u32_e32 v8, vcc, v8, v15
	v_mul_hi_u32 v13, v3, v12
	s_nop 0
	v_addc_co_u32_e32 v8, vcc, v9, v14, vcc
	v_mul_lo_u32 v10, v3, v12
	s_nop 0
	v_addc_co_u32_e32 v11, vcc, 0, v13, vcc
	v_mov_b32_e32 v9, v2
	v_lshl_add_u64 v[8:9], v[8:9], 0, v[10:11]
	v_add_co_u32_e32 v1, vcc, v1, v8
	v_mul_hi_u32 v10, v6, v1
	s_nop 0
	v_addc_co_u32_e32 v3, vcc, v3, v9, vcc
	v_mad_u64_u32 v[8:9], s[2:3], v6, v3, 0
	v_mov_b32_e32 v11, v2
	v_lshl_add_u64 v[8:9], v[10:11], 0, v[8:9]
	v_mad_u64_u32 v[12:13], s[2:3], v7, v1, 0
	v_add_co_u32_e32 v1, vcc, v8, v12
	v_mad_u64_u32 v[10:11], s[2:3], v7, v3, 0
	s_nop 0
	v_addc_co_u32_e32 v8, vcc, v9, v13, vcc
	v_mov_b32_e32 v9, v2
	s_nop 0
	v_addc_co_u32_e32 v11, vcc, 0, v11, vcc
	v_lshl_add_u64 v[8:9], v[8:9], 0, v[10:11]
	v_mul_lo_u32 v1, s25, v8
	v_mul_lo_u32 v3, s24, v9
	v_mad_u64_u32 v[10:11], s[2:3], s24, v8, 0
	v_add3_u32 v1, v11, v3, v1
	v_sub_u32_e32 v3, v7, v1
	v_mov_b32_e32 v11, s25
	v_sub_co_u32_e32 v14, vcc, v6, v10
	v_lshl_add_u64 v[12:13], v[8:9], 0, 1
	s_nop 0
	v_subb_co_u32_e64 v3, s[2:3], v3, v11, vcc
	v_subrev_co_u32_e64 v10, s[2:3], s24, v14
	v_subb_co_u32_e32 v1, vcc, v7, v1, vcc
	s_nop 0
	v_subbrev_co_u32_e64 v3, s[2:3], 0, v3, s[2:3]
	v_cmp_le_u32_e64 s[2:3], s25, v3
	v_cmp_le_u32_e32 vcc, s25, v1
	s_nop 0
	v_cndmask_b32_e64 v11, 0, -1, s[2:3]
	v_cmp_le_u32_e64 s[2:3], s24, v10
	s_nop 1
	v_cndmask_b32_e64 v10, 0, -1, s[2:3]
	v_cmp_eq_u32_e64 s[2:3], s25, v3
	s_nop 1
	v_cndmask_b32_e64 v3, v11, v10, s[2:3]
	v_lshl_add_u64 v[10:11], v[8:9], 0, 2
	v_cmp_ne_u32_e64 s[2:3], 0, v3
	s_nop 1
	v_cndmask_b32_e64 v3, v13, v11, s[2:3]
	v_cndmask_b32_e64 v11, 0, -1, vcc
	v_cmp_le_u32_e32 vcc, s24, v14
	s_nop 1
	v_cndmask_b32_e64 v13, 0, -1, vcc
	v_cmp_eq_u32_e32 vcc, s25, v1
	s_nop 1
	v_cndmask_b32_e32 v1, v11, v13, vcc
	v_cmp_ne_u32_e32 vcc, 0, v1
	v_cndmask_b32_e64 v1, v12, v10, s[2:3]
	s_nop 0
	v_cndmask_b32_e32 v73, v9, v3, vcc
	v_cndmask_b32_e32 v72, v8, v1, vcc
.LBB0_4:                                ;   in Loop: Header=BB0_2 Depth=1
	s_andn2_saveexec_b64 s[2:3], s[26:27]
	s_cbranch_execz .LBB0_6
; %bb.5:                                ;   in Loop: Header=BB0_2 Depth=1
	v_cvt_f32_u32_e32 v1, s24
	s_sub_i32 s26, 0, s24
	v_mov_b32_e32 v73, v2
	v_rcp_iflag_f32_e32 v1, v1
	s_nop 0
	v_mul_f32_e32 v1, 0x4f7ffffe, v1
	v_cvt_u32_f32_e32 v1, v1
	v_mul_lo_u32 v3, s26, v1
	v_mul_hi_u32 v3, v1, v3
	v_add_u32_e32 v1, v1, v3
	v_mul_hi_u32 v1, v6, v1
	v_mul_lo_u32 v3, v1, s24
	v_sub_u32_e32 v3, v6, v3
	v_add_u32_e32 v8, 1, v1
	v_subrev_u32_e32 v9, s24, v3
	v_cmp_le_u32_e32 vcc, s24, v3
	s_nop 1
	v_cndmask_b32_e32 v3, v3, v9, vcc
	v_cndmask_b32_e32 v1, v1, v8, vcc
	v_add_u32_e32 v8, 1, v1
	v_cmp_le_u32_e32 vcc, s24, v3
	s_nop 1
	v_cndmask_b32_e32 v72, v1, v8, vcc
.LBB0_6:                                ;   in Loop: Header=BB0_2 Depth=1
	s_or_b64 exec, exec, s[2:3]
	v_mad_u64_u32 v[8:9], s[2:3], v72, s24, 0
	s_load_dwordx2 s[2:3], s[18:19], 0x0
	v_mul_lo_u32 v1, v73, s24
	v_mul_lo_u32 v3, v72, s25
	s_load_dwordx2 s[24:25], s[16:17], 0x0
	s_add_u32 s22, s22, 1
	v_add3_u32 v1, v9, v3, v1
	v_sub_co_u32_e32 v3, vcc, v6, v8
	s_addc_u32 s23, s23, 0
	s_nop 0
	v_subb_co_u32_e32 v1, vcc, v7, v1, vcc
	s_add_u32 s16, s16, 8
	s_waitcnt lgkmcnt(0)
	v_mul_lo_u32 v6, s2, v1
	v_mul_lo_u32 v7, s3, v3
	v_mad_u64_u32 v[4:5], s[2:3], s2, v3, v[4:5]
	s_addc_u32 s17, s17, 0
	v_add3_u32 v5, v7, v5, v6
	v_mul_lo_u32 v1, s24, v1
	v_mul_lo_u32 v6, s25, v3
	v_mad_u64_u32 v[68:69], s[2:3], s24, v3, v[68:69]
	s_add_u32 s18, s18, 8
	v_add3_u32 v69, v6, v69, v1
	s_addc_u32 s19, s19, 0
	v_mov_b64_e32 v[6:7], s[6:7]
	s_add_u32 s20, s20, 8
	v_cmp_ge_u64_e32 vcc, s[22:23], v[6:7]
	s_addc_u32 s21, s21, 0
	s_cbranch_vccnz .LBB0_8
; %bb.7:                                ;   in Loop: Header=BB0_2 Depth=1
	v_mov_b64_e32 v[6:7], v[72:73]
	s_branch .LBB0_2
.LBB0_8:
	s_load_dwordx2 s[18:19], s[0:1], 0x28
	s_lshl_b64 s[16:17], s[6:7], 3
	s_add_u32 s2, s14, s16
	s_addc_u32 s3, s15, s17
                                        ; implicit-def: $vgpr70
	s_waitcnt lgkmcnt(0)
	v_cmp_gt_u64_e64 s[0:1], s[18:19], v[72:73]
	v_cmp_le_u64_e32 vcc, s[18:19], v[72:73]
	s_and_saveexec_b64 s[6:7], vcc
	s_xor_b64 s[6:7], exec, s[6:7]
; %bb.9:
	s_mov_b32 s14, 0x7878788
	v_mul_hi_u32 v1, v0, s14
	v_mul_u32_u24_e32 v1, 34, v1
	v_sub_u32_e32 v70, v0, v1
                                        ; implicit-def: $vgpr0
                                        ; implicit-def: $vgpr4_vgpr5
; %bb.10:
	s_or_saveexec_b64 s[6:7], s[6:7]
                                        ; implicit-def: $vgpr66_vgpr67
                                        ; implicit-def: $vgpr62_vgpr63
                                        ; implicit-def: $vgpr58_vgpr59
                                        ; implicit-def: $vgpr42_vgpr43
                                        ; implicit-def: $vgpr34_vgpr35
                                        ; implicit-def: $vgpr22_vgpr23
                                        ; implicit-def: $vgpr14_vgpr15
                                        ; implicit-def: $vgpr6_vgpr7
                                        ; implicit-def: $vgpr2_vgpr3
                                        ; implicit-def: $vgpr10_vgpr11
                                        ; implicit-def: $vgpr18_vgpr19
                                        ; implicit-def: $vgpr26_vgpr27
                                        ; implicit-def: $vgpr30_vgpr31
                                        ; implicit-def: $vgpr46_vgpr47
                                        ; implicit-def: $vgpr50_vgpr51
                                        ; implicit-def: $vgpr112
                                        ; implicit-def: $vgpr54_vgpr55
                                        ; implicit-def: $vgpr38_vgpr39
	s_xor_b64 exec, exec, s[6:7]
	s_cbranch_execz .LBB0_12
; %bb.11:
	s_add_u32 s12, s12, s16
	s_addc_u32 s13, s13, s17
	s_load_dwordx2 s[12:13], s[12:13], 0x0
	s_mov_b32 s14, 0x7878788
	s_waitcnt lgkmcnt(0)
	v_mul_lo_u32 v1, s13, v72
	v_mul_lo_u32 v6, s12, v73
	v_mad_u64_u32 v[2:3], s[12:13], s12, v72, 0
	v_add3_u32 v3, v3, v6, v1
	v_mul_hi_u32 v1, v0, s14
	v_mul_u32_u24_e32 v1, 34, v1
	v_sub_u32_e32 v70, v0, v1
	v_lshl_add_u64 v[0:1], v[2:3], 4, s[8:9]
	v_lshl_add_u64 v[0:1], v[4:5], 4, v[0:1]
	v_lshlrev_b32_e32 v2, 4, v70
	v_mov_b32_e32 v3, 0
	v_lshl_add_u64 v[32:33], v[0:1], 0, v[2:3]
	s_movk_i32 s8, 0x1000
	global_load_dwordx4 v[36:39], v[32:33], off
	global_load_dwordx4 v[52:55], v[32:33], off offset:544
	global_load_dwordx4 v[48:51], v[32:33], off offset:1088
	;; [unrolled: 1-line block ×7, first 2 shown]
	v_add_co_u32_e32 v74, vcc, s8, v32
	v_mov_b32_e32 v112, v70
	s_nop 0
	v_addc_co_u32_e32 v75, vcc, 0, v33, vcc
	v_add_co_u32_e32 v76, vcc, 0x2000, v32
	global_load_dwordx4 v[0:3], v[74:75], off offset:256
	global_load_dwordx4 v[4:7], v[74:75], off offset:800
	;; [unrolled: 1-line block ×4, first 2 shown]
	v_addc_co_u32_e32 v77, vcc, 0, v33, vcc
	global_load_dwordx4 v[32:35], v[74:75], off offset:2432
	global_load_dwordx4 v[40:43], v[74:75], off offset:2976
	;; [unrolled: 1-line block ×5, first 2 shown]
.LBB0_12:
	s_or_b64 exec, exec, s[6:7]
	s_waitcnt vmcnt(15)
	v_add_f64 v[74:75], v[52:53], v[36:37]
	v_add_f64 v[76:77], v[54:55], v[38:39]
	s_waitcnt vmcnt(14)
	v_add_f64 v[74:75], v[48:49], v[74:75]
	v_add_f64 v[76:77], v[50:51], v[76:77]
	;; [unrolled: 3-line block ×15, first 2 shown]
	s_mov_b32 s6, 0x5d8e7cdc
	s_mov_b32 s8, 0x2a9d6da3
	;; [unrolled: 1-line block ×8, first 2 shown]
	s_waitcnt vmcnt(0)
	v_add_f64 v[76:77], v[64:65], v[74:75]
	v_add_f64 v[74:75], v[66:67], v[80:81]
	;; [unrolled: 1-line block ×4, first 2 shown]
	v_add_f64 v[52:53], v[52:53], -v[64:65]
	v_add_f64 v[54:55], v[54:55], -v[66:67]
	s_mov_b32 s7, 0xbfd71e95
	s_mov_b32 s16, 0x370991
	;; [unrolled: 1-line block ×16, first 2 shown]
	v_mul_f64 v[64:65], v[54:55], s[6:7]
	s_mov_b32 s17, 0x3fedd6d0
	v_mul_f64 v[84:85], v[52:53], s[6:7]
	v_mul_f64 v[88:89], v[54:55], s[8:9]
	s_mov_b32 s19, 0x3fe7a5f6
	v_mul_f64 v[92:93], v[52:53], s[8:9]
	v_mul_f64 v[96:97], v[54:55], s[12:13]
	s_mov_b32 s21, 0x3fdc86fa
	v_mul_f64 v[100:101], v[52:53], s[12:13]
	v_mul_f64 v[102:103], v[54:55], s[14:15]
	s_mov_b32 s23, 0x3fb79ee6
	v_mul_f64 v[106:107], v[54:55], s[24:25]
	s_mov_b32 s27, 0xbfd183b1
	v_mul_f64 v[110:111], v[54:55], s[28:29]
	s_mov_b32 s31, 0xbfe348c8
	v_add_f64 v[116:117], v[60:61], v[48:49]
	v_add_f64 v[48:49], v[48:49], -v[60:61]
	v_add_f64 v[60:61], v[56:57], v[44:45]
	v_add_f64 v[44:45], v[44:45], -v[56:57]
	v_mul_f64 v[56:57], v[54:55], s[34:35]
	s_mov_b32 s39, 0xbfeb34fa
	v_mul_f64 v[54:55], v[54:55], s[40:41]
	s_mov_b32 s43, 0xbfef7484
	v_mul_f64 v[122:123], v[52:53], s[14:15]
	v_mul_f64 v[126:127], v[52:53], s[24:25]
	;; [unrolled: 1-line block ×5, first 2 shown]
	v_fma_f64 v[66:67], s[16:17], v[80:81], v[64:65]
	v_fma_f64 v[86:87], v[82:83], s[16:17], -v[84:85]
	v_fma_f64 v[64:65], v[80:81], s[16:17], -v[64:65]
	v_fmac_f64_e32 v[84:85], s[16:17], v[82:83]
	v_fma_f64 v[90:91], s[18:19], v[80:81], v[88:89]
	v_fma_f64 v[94:95], v[82:83], s[18:19], -v[92:93]
	v_fma_f64 v[88:89], v[80:81], s[18:19], -v[88:89]
	v_fmac_f64_e32 v[92:93], s[18:19], v[82:83]
	v_fma_f64 v[98:99], s[20:21], v[80:81], v[96:97]
	v_fma_f64 v[96:97], v[80:81], s[20:21], -v[96:97]
	v_fma_f64 v[104:105], s[22:23], v[80:81], v[102:103]
	v_fma_f64 v[102:103], v[80:81], s[22:23], -v[102:103]
	;; [unrolled: 2-line block ×4, first 2 shown]
	v_add_f64 v[118:119], v[62:63], v[50:51]
	v_add_f64 v[50:51], v[50:51], -v[62:63]
	v_add_f64 v[62:63], v[58:59], v[46:47]
	v_add_f64 v[46:47], v[46:47], -v[58:59]
	v_fma_f64 v[58:59], s[38:39], v[80:81], v[56:57]
	v_fma_f64 v[56:57], v[80:81], s[38:39], -v[56:57]
	v_fma_f64 v[120:121], s[42:43], v[80:81], v[54:55]
	v_fma_f64 v[54:55], v[80:81], s[42:43], -v[54:55]
	v_fma_f64 v[80:81], v[82:83], s[20:21], -v[100:101]
	v_fmac_f64_e32 v[100:101], s[20:21], v[82:83]
	v_fma_f64 v[124:125], v[82:83], s[22:23], -v[122:123]
	v_fmac_f64_e32 v[122:123], s[22:23], v[82:83]
	;; [unrolled: 2-line block ×6, first 2 shown]
	s_mov_b32 s33, 0x24924925
	v_add_f64 v[82:83], v[38:39], v[86:87]
	v_add_f64 v[84:85], v[38:39], v[84:85]
	;; [unrolled: 1-line block ×19, first 2 shown]
	v_mul_hi_u32 v52, v78, s33
	v_sub_u32_e32 v53, v78, v52
	v_lshrrev_b32_e32 v53, 1, v53
	v_add_u32_e32 v52, v53, v52
	v_lshrrev_b32_e32 v52, 2, v52
	v_mul_lo_u32 v52, v52, 7
	v_sub_u32_e32 v71, v78, v52
	v_mul_f64 v[52:53], v[50:51], s[8:9]
	v_add_f64 v[66:67], v[36:37], v[66:67]
	v_add_f64 v[64:65], v[36:37], v[64:65]
	;; [unrolled: 1-line block ×13, first 2 shown]
	v_fma_f64 v[54:55], s[18:19], v[116:117], v[52:53]
	v_add_f64 v[54:55], v[54:55], v[66:67]
	v_mul_f64 v[66:67], v[48:49], s[8:9]
	v_fma_f64 v[78:79], v[118:119], s[18:19], -v[66:67]
	v_fma_f64 v[52:53], v[116:117], s[18:19], -v[52:53]
	v_fmac_f64_e32 v[66:67], s[18:19], v[118:119]
	v_add_f64 v[52:53], v[52:53], v[64:65]
	v_add_f64 v[64:65], v[66:67], v[84:85]
	v_mul_f64 v[66:67], v[50:51], s[14:15]
	v_add_f64 v[78:79], v[78:79], v[82:83]
	v_fma_f64 v[82:83], s[22:23], v[116:117], v[66:67]
	v_mul_f64 v[84:85], v[48:49], s[14:15]
	v_fma_f64 v[66:67], v[116:117], s[22:23], -v[66:67]
	v_add_f64 v[82:83], v[82:83], v[86:87]
	v_fma_f64 v[86:87], v[118:119], s[22:23], -v[84:85]
	v_add_f64 v[66:67], v[66:67], v[88:89]
	v_fmac_f64_e32 v[84:85], s[22:23], v[118:119]
	v_mul_f64 v[88:89], v[50:51], s[28:29]
	v_add_f64 v[86:87], v[86:87], v[90:91]
	v_add_f64 v[84:85], v[84:85], v[92:93]
	v_fma_f64 v[90:91], s[30:31], v[116:117], v[88:89]
	v_mul_f64 v[92:93], v[48:49], s[28:29]
	v_add_f64 v[90:91], v[90:91], v[94:95]
	v_fma_f64 v[94:95], v[118:119], s[30:31], -v[92:93]
	v_add_f64 v[80:81], v[94:95], v[80:81]
	v_fma_f64 v[88:89], v[116:117], s[30:31], -v[88:89]
	v_fmac_f64_e32 v[92:93], s[30:31], v[118:119]
	v_mul_f64 v[94:95], v[50:51], s[40:41]
	v_add_f64 v[88:89], v[88:89], v[96:97]
	v_add_f64 v[92:93], v[92:93], v[98:99]
	v_fma_f64 v[96:97], s[42:43], v[116:117], v[94:95]
	v_mul_f64 v[98:99], v[48:49], s[40:41]
	v_fma_f64 v[94:95], v[116:117], s[42:43], -v[94:95]
	s_mov_b32 s47, 0x3fe0d888
	s_mov_b32 s46, s34
	v_add_f64 v[96:97], v[96:97], v[100:101]
	v_fma_f64 v[100:101], v[118:119], s[42:43], -v[98:99]
	v_add_f64 v[94:95], v[94:95], v[102:103]
	v_mul_f64 v[102:103], v[50:51], s[46:47]
	v_add_f64 v[100:101], v[100:101], v[104:105]
	v_fma_f64 v[104:105], s[38:39], v[116:117], v[102:103]
	v_fmac_f64_e32 v[98:99], s[42:43], v[118:119]
	v_add_f64 v[104:105], v[104:105], v[108:109]
	v_mul_f64 v[108:109], v[48:49], s[46:47]
	v_add_f64 v[98:99], v[98:99], v[122:123]
	v_fma_f64 v[122:123], v[118:119], s[38:39], -v[108:109]
	v_fma_f64 v[102:103], v[116:117], s[38:39], -v[102:103]
	v_fmac_f64_e32 v[108:109], s[38:39], v[118:119]
	s_mov_b32 s45, 0x3feec746
	s_mov_b32 s44, s24
	v_add_f64 v[102:103], v[102:103], v[106:107]
	v_add_f64 v[106:107], v[108:109], v[126:127]
	v_mul_f64 v[108:109], v[50:51], s[44:45]
	v_add_f64 v[122:123], v[122:123], v[124:125]
	v_fma_f64 v[124:125], s[26:27], v[116:117], v[108:109]
	v_add_f64 v[114:115], v[124:125], v[114:115]
	v_mul_f64 v[124:125], v[48:49], s[44:45]
	v_fma_f64 v[126:127], v[118:119], s[26:27], -v[124:125]
	v_fma_f64 v[108:109], v[116:117], s[26:27], -v[108:109]
	v_fmac_f64_e32 v[124:125], s[26:27], v[118:119]
	s_mov_b32 s49, 0x3feca52d
	s_mov_b32 s48, s12
	v_add_f64 v[108:109], v[108:109], v[110:111]
	v_add_f64 v[110:111], v[124:125], v[130:131]
	v_mul_f64 v[124:125], v[50:51], s[48:49]
	v_add_f64 v[126:127], v[126:127], v[128:129]
	v_fma_f64 v[128:129], s[20:21], v[116:117], v[124:125]
	v_add_f64 v[58:59], v[128:129], v[58:59]
	v_mul_f64 v[128:129], v[48:49], s[48:49]
	s_mov_b32 s51, 0x3fd71e95
	s_mov_b32 s50, s6
	v_fma_f64 v[130:131], v[118:119], s[20:21], -v[128:129]
	v_fma_f64 v[124:125], v[116:117], s[20:21], -v[124:125]
	v_fmac_f64_e32 v[128:129], s[20:21], v[118:119]
	v_mul_f64 v[50:51], v[50:51], s[50:51]
	v_add_f64 v[56:57], v[124:125], v[56:57]
	v_add_f64 v[124:125], v[128:129], v[134:135]
	v_fma_f64 v[128:129], s[16:17], v[116:117], v[50:51]
	v_mul_f64 v[48:49], v[48:49], s[50:51]
	v_add_f64 v[120:121], v[128:129], v[120:121]
	v_fma_f64 v[128:129], v[118:119], s[16:17], -v[48:49]
	v_fmac_f64_e32 v[48:49], s[16:17], v[118:119]
	v_fma_f64 v[50:51], v[116:117], s[16:17], -v[50:51]
	v_add_f64 v[38:39], v[48:49], v[38:39]
	v_mul_f64 v[48:49], v[46:47], s[12:13]
	v_add_f64 v[36:37], v[50:51], v[36:37]
	v_fma_f64 v[50:51], s[20:21], v[60:61], v[48:49]
	v_add_f64 v[50:51], v[50:51], v[54:55]
	v_mul_f64 v[54:55], v[44:45], s[12:13]
	v_fma_f64 v[116:117], v[62:63], s[20:21], -v[54:55]
	v_fma_f64 v[48:49], v[60:61], s[20:21], -v[48:49]
	v_fmac_f64_e32 v[54:55], s[20:21], v[62:63]
	v_add_f64 v[48:49], v[48:49], v[52:53]
	v_add_f64 v[52:53], v[54:55], v[64:65]
	v_mul_f64 v[54:55], v[46:47], s[28:29]
	v_fma_f64 v[64:65], s[30:31], v[60:61], v[54:55]
	v_add_f64 v[64:65], v[64:65], v[82:83]
	v_mul_f64 v[82:83], v[44:45], s[28:29]
	v_add_f64 v[78:79], v[116:117], v[78:79]
	v_fma_f64 v[116:117], v[62:63], s[30:31], -v[82:83]
	v_fma_f64 v[54:55], v[60:61], s[30:31], -v[54:55]
	v_fmac_f64_e32 v[82:83], s[30:31], v[62:63]
	s_mov_b32 s53, 0x3fc7851a
	s_mov_b32 s52, s40
	v_add_f64 v[54:55], v[54:55], v[66:67]
	v_add_f64 v[66:67], v[82:83], v[84:85]
	v_mul_f64 v[82:83], v[46:47], s[52:53]
	v_fma_f64 v[84:85], s[42:43], v[60:61], v[82:83]
	v_add_f64 v[84:85], v[84:85], v[90:91]
	v_mul_f64 v[90:91], v[44:45], s[52:53]
	v_add_f64 v[86:87], v[116:117], v[86:87]
	v_fma_f64 v[116:117], v[62:63], s[42:43], -v[90:91]
	v_fma_f64 v[82:83], v[60:61], s[42:43], -v[82:83]
	v_fmac_f64_e32 v[90:91], s[42:43], v[62:63]
	v_add_f64 v[82:83], v[82:83], v[88:89]
	v_add_f64 v[88:89], v[90:91], v[92:93]
	v_mul_f64 v[90:91], v[46:47], s[44:45]
	v_fma_f64 v[92:93], s[26:27], v[60:61], v[90:91]
	v_add_f64 v[92:93], v[92:93], v[96:97]
	v_mul_f64 v[96:97], v[44:45], s[44:45]
	v_add_f64 v[80:81], v[116:117], v[80:81]
	v_fma_f64 v[116:117], v[62:63], s[26:27], -v[96:97]
	v_fma_f64 v[90:91], v[60:61], s[26:27], -v[90:91]
	v_fmac_f64_e32 v[96:97], s[26:27], v[62:63]
	s_mov_b32 s55, 0x3fe58eea
	s_mov_b32 s54, s8
	v_add_f64 v[90:91], v[90:91], v[94:95]
	v_add_f64 v[94:95], v[96:97], v[98:99]
	v_mul_f64 v[96:97], v[46:47], s[54:55]
	v_fma_f64 v[98:99], s[18:19], v[60:61], v[96:97]
	v_add_f64 v[98:99], v[98:99], v[104:105]
	v_mul_f64 v[104:105], v[44:45], s[54:55]
	v_add_f64 v[100:101], v[116:117], v[100:101]
	v_fma_f64 v[116:117], v[62:63], s[18:19], -v[104:105]
	v_fma_f64 v[96:97], v[60:61], s[18:19], -v[96:97]
	v_fmac_f64_e32 v[104:105], s[18:19], v[62:63]
	v_add_f64 v[96:97], v[96:97], v[102:103]
	v_add_f64 v[102:103], v[104:105], v[106:107]
	v_mul_f64 v[104:105], v[46:47], s[6:7]
	v_fma_f64 v[106:107], s[16:17], v[60:61], v[104:105]
	v_add_f64 v[106:107], v[106:107], v[114:115]
	v_mul_f64 v[114:115], v[44:45], s[6:7]
	v_fma_f64 v[118:119], v[62:63], s[16:17], -v[114:115]
	v_fma_f64 v[104:105], v[60:61], s[16:17], -v[104:105]
	v_fmac_f64_e32 v[114:115], s[16:17], v[62:63]
	v_add_f64 v[104:105], v[104:105], v[108:109]
	v_add_f64 v[108:109], v[114:115], v[110:111]
	v_mul_f64 v[110:111], v[46:47], s[14:15]
	v_fma_f64 v[114:115], s[22:23], v[60:61], v[110:111]
	v_add_f64 v[58:59], v[114:115], v[58:59]
	v_mul_f64 v[114:115], v[44:45], s[14:15]
	v_add_f64 v[116:117], v[116:117], v[122:123]
	v_fma_f64 v[122:123], v[62:63], s[22:23], -v[114:115]
	v_fma_f64 v[110:111], v[60:61], s[22:23], -v[110:111]
	v_fmac_f64_e32 v[114:115], s[22:23], v[62:63]
	v_mul_f64 v[46:47], v[46:47], s[34:35]
	v_add_f64 v[56:57], v[110:111], v[56:57]
	v_add_f64 v[110:111], v[114:115], v[124:125]
	v_fma_f64 v[114:115], s[38:39], v[60:61], v[46:47]
	v_mul_f64 v[44:45], v[44:45], s[34:35]
	v_fma_f64 v[46:47], v[60:61], s[38:39], -v[46:47]
	v_add_f64 v[114:115], v[114:115], v[120:121]
	v_fma_f64 v[120:121], v[62:63], s[38:39], -v[44:45]
	v_add_f64 v[36:37], v[46:47], v[36:37]
	v_fmac_f64_e32 v[44:45], s[38:39], v[62:63]
	v_add_f64 v[46:47], v[42:43], v[30:31]
	v_add_f64 v[30:31], v[30:31], -v[42:43]
	v_add_f64 v[38:39], v[44:45], v[38:39]
	v_add_f64 v[44:45], v[40:41], v[28:29]
	v_add_f64 v[28:29], v[28:29], -v[40:41]
	v_mul_f64 v[40:41], v[30:31], s[14:15]
	v_fma_f64 v[42:43], s[22:23], v[44:45], v[40:41]
	v_add_f64 v[42:43], v[42:43], v[50:51]
	v_mul_f64 v[50:51], v[28:29], s[14:15]
	v_fma_f64 v[60:61], v[46:47], s[22:23], -v[50:51]
	v_fma_f64 v[40:41], v[44:45], s[22:23], -v[40:41]
	v_fmac_f64_e32 v[50:51], s[22:23], v[46:47]
	v_add_f64 v[40:41], v[40:41], v[48:49]
	v_add_f64 v[48:49], v[50:51], v[52:53]
	v_mul_f64 v[50:51], v[30:31], s[40:41]
	v_fma_f64 v[52:53], s[42:43], v[44:45], v[50:51]
	v_mul_f64 v[62:63], v[28:29], s[40:41]
	v_add_f64 v[52:53], v[52:53], v[64:65]
	v_fma_f64 v[64:65], v[46:47], s[42:43], -v[62:63]
	v_fma_f64 v[50:51], v[44:45], s[42:43], -v[50:51]
	v_fmac_f64_e32 v[62:63], s[42:43], v[46:47]
	v_add_f64 v[50:51], v[50:51], v[54:55]
	v_add_f64 v[54:55], v[62:63], v[66:67]
	v_mul_f64 v[62:63], v[30:31], s[44:45]
	v_add_f64 v[60:61], v[60:61], v[78:79]
	v_fma_f64 v[66:67], s[26:27], v[44:45], v[62:63]
	v_mul_f64 v[78:79], v[28:29], s[44:45]
	v_fma_f64 v[62:63], v[44:45], s[26:27], -v[62:63]
	v_add_f64 v[66:67], v[66:67], v[84:85]
	v_fma_f64 v[84:85], v[46:47], s[26:27], -v[78:79]
	v_add_f64 v[62:63], v[62:63], v[82:83]
	v_mul_f64 v[82:83], v[30:31], s[50:51]
	v_add_f64 v[64:65], v[64:65], v[86:87]
	v_add_f64 v[80:81], v[84:85], v[80:81]
	v_fmac_f64_e32 v[78:79], s[26:27], v[46:47]
	v_fma_f64 v[84:85], s[16:17], v[44:45], v[82:83]
	v_mul_f64 v[86:87], v[28:29], s[50:51]
	v_fma_f64 v[82:83], v[44:45], s[16:17], -v[82:83]
	v_add_f64 v[78:79], v[78:79], v[88:89]
	v_fma_f64 v[88:89], v[46:47], s[16:17], -v[86:87]
	v_add_f64 v[82:83], v[82:83], v[90:91]
	v_fmac_f64_e32 v[86:87], s[16:17], v[46:47]
	v_mul_f64 v[90:91], v[30:31], s[12:13]
	v_add_f64 v[84:85], v[84:85], v[92:93]
	v_add_f64 v[86:87], v[86:87], v[94:95]
	v_fma_f64 v[92:93], s[20:21], v[44:45], v[90:91]
	v_mul_f64 v[94:95], v[28:29], s[12:13]
	v_fma_f64 v[90:91], v[44:45], s[20:21], -v[90:91]
	v_add_f64 v[92:93], v[92:93], v[98:99]
	v_fma_f64 v[98:99], v[46:47], s[20:21], -v[94:95]
	v_add_f64 v[90:91], v[90:91], v[96:97]
	v_fmac_f64_e32 v[94:95], s[20:21], v[46:47]
	v_mul_f64 v[96:97], v[30:31], s[34:35]
	v_add_f64 v[88:89], v[88:89], v[100:101]
	v_add_f64 v[94:95], v[94:95], v[102:103]
	v_fma_f64 v[100:101], s[38:39], v[44:45], v[96:97]
	v_mul_f64 v[102:103], v[28:29], s[34:35]
	v_fma_f64 v[96:97], v[44:45], s[38:39], -v[96:97]
	s_mov_b32 s57, 0x3fe9895b
	s_mov_b32 s56, s28
	v_add_f64 v[100:101], v[100:101], v[106:107]
	v_fma_f64 v[106:107], v[46:47], s[38:39], -v[102:103]
	v_add_f64 v[96:97], v[96:97], v[104:105]
	v_fmac_f64_e32 v[102:103], s[38:39], v[46:47]
	v_mul_f64 v[104:105], v[30:31], s[56:57]
	v_add_f64 v[102:103], v[102:103], v[108:109]
	v_fma_f64 v[108:109], s[30:31], v[44:45], v[104:105]
	v_add_f64 v[58:59], v[108:109], v[58:59]
	v_mul_f64 v[108:109], v[28:29], s[56:57]
	v_add_f64 v[98:99], v[98:99], v[116:117]
	v_fma_f64 v[116:117], v[46:47], s[30:31], -v[108:109]
	v_fma_f64 v[104:105], v[44:45], s[30:31], -v[104:105]
	v_fmac_f64_e32 v[108:109], s[30:31], v[46:47]
	v_mul_f64 v[28:29], v[28:29], s[54:55]
	v_add_f64 v[56:57], v[104:105], v[56:57]
	v_add_f64 v[104:105], v[108:109], v[110:111]
	v_mul_f64 v[30:31], v[30:31], s[54:55]
	v_fma_f64 v[110:111], v[46:47], s[18:19], -v[28:29]
	v_fmac_f64_e32 v[28:29], s[18:19], v[46:47]
	v_fma_f64 v[108:109], s[18:19], v[44:45], v[30:31]
	v_fma_f64 v[30:31], v[44:45], s[18:19], -v[30:31]
	v_add_f64 v[28:29], v[28:29], v[38:39]
	v_add_f64 v[38:39], v[34:35], v[26:27]
	v_add_f64 v[26:27], v[26:27], -v[34:35]
	v_add_f64 v[30:31], v[30:31], v[36:37]
	v_add_f64 v[36:37], v[32:33], v[24:25]
	v_add_f64 v[24:25], v[24:25], -v[32:33]
	v_mul_f64 v[32:33], v[26:27], s[24:25]
	v_fma_f64 v[34:35], s[26:27], v[36:37], v[32:33]
	v_add_f64 v[34:35], v[34:35], v[42:43]
	v_mul_f64 v[42:43], v[24:25], s[24:25]
	v_fma_f64 v[44:45], v[38:39], s[26:27], -v[42:43]
	v_fma_f64 v[32:33], v[36:37], s[26:27], -v[32:33]
	v_fmac_f64_e32 v[42:43], s[26:27], v[38:39]
	v_add_f64 v[32:33], v[32:33], v[40:41]
	v_add_f64 v[40:41], v[42:43], v[48:49]
	v_mul_f64 v[42:43], v[26:27], s[46:47]
	v_fma_f64 v[46:47], s[38:39], v[36:37], v[42:43]
	v_mul_f64 v[48:49], v[24:25], s[46:47]
	v_fma_f64 v[42:43], v[36:37], s[38:39], -v[42:43]
	v_add_f64 v[46:47], v[46:47], v[52:53]
	v_fma_f64 v[52:53], v[38:39], s[38:39], -v[48:49]
	v_add_f64 v[42:43], v[42:43], v[50:51]
	v_fmac_f64_e32 v[48:49], s[38:39], v[38:39]
	v_mul_f64 v[50:51], v[26:27], s[54:55]
	v_add_f64 v[48:49], v[48:49], v[54:55]
	v_fma_f64 v[54:55], s[18:19], v[36:37], v[50:51]
	v_fma_f64 v[50:51], v[36:37], s[18:19], -v[50:51]
	v_add_f64 v[50:51], v[50:51], v[62:63]
	v_mul_f64 v[62:63], v[26:27], s[12:13]
	v_add_f64 v[44:45], v[44:45], v[60:61]
	v_add_f64 v[54:55], v[54:55], v[66:67]
	v_mul_f64 v[60:61], v[24:25], s[54:55]
	v_fma_f64 v[66:67], s[20:21], v[36:37], v[62:63]
	v_fma_f64 v[62:63], v[36:37], s[20:21], -v[62:63]
	v_add_f64 v[52:53], v[52:53], v[64:65]
	v_fma_f64 v[64:65], v[38:39], s[18:19], -v[60:61]
	v_fmac_f64_e32 v[60:61], s[18:19], v[38:39]
	v_add_f64 v[62:63], v[62:63], v[82:83]
	v_mul_f64 v[82:83], v[26:27], s[40:41]
	v_add_f64 v[60:61], v[60:61], v[78:79]
	v_add_f64 v[66:67], v[66:67], v[84:85]
	v_mul_f64 v[78:79], v[24:25], s[12:13]
	v_fma_f64 v[84:85], s[42:43], v[36:37], v[82:83]
	v_fma_f64 v[82:83], v[36:37], s[42:43], -v[82:83]
	s_mov_b32 s59, 0x3fefdd0d
	s_mov_b32 s58, s14
	v_add_f64 v[64:65], v[64:65], v[80:81]
	v_fma_f64 v[80:81], v[38:39], s[20:21], -v[78:79]
	v_fmac_f64_e32 v[78:79], s[20:21], v[38:39]
	v_add_f64 v[82:83], v[82:83], v[90:91]
	v_mul_f64 v[90:91], v[26:27], s[58:59]
	v_add_f64 v[78:79], v[78:79], v[86:87]
	v_add_f64 v[84:85], v[84:85], v[92:93]
	v_mul_f64 v[86:87], v[24:25], s[40:41]
	v_fma_f64 v[92:93], s[22:23], v[36:37], v[90:91]
	v_fma_f64 v[90:91], v[36:37], s[22:23], -v[90:91]
	v_add_f64 v[80:81], v[80:81], v[88:89]
	v_fma_f64 v[88:89], v[38:39], s[42:43], -v[86:87]
	v_fmac_f64_e32 v[86:87], s[42:43], v[38:39]
	v_add_f64 v[90:91], v[90:91], v[96:97]
	v_mul_f64 v[96:97], v[26:27], s[6:7]
	v_add_f64 v[86:87], v[86:87], v[94:95]
	v_add_f64 v[92:93], v[92:93], v[100:101]
	v_mul_f64 v[94:95], v[24:25], s[58:59]
	v_fma_f64 v[100:101], s[16:17], v[36:37], v[96:97]
	v_add_f64 v[88:89], v[88:89], v[98:99]
	v_fma_f64 v[98:99], v[38:39], s[22:23], -v[94:95]
	v_fmac_f64_e32 v[94:95], s[22:23], v[38:39]
	v_add_f64 v[58:59], v[100:101], v[58:59]
	v_mul_f64 v[100:101], v[24:25], s[6:7]
	v_add_f64 v[94:95], v[94:95], v[102:103]
	v_fma_f64 v[102:103], v[38:39], s[16:17], -v[100:101]
	v_fma_f64 v[96:97], v[36:37], s[16:17], -v[96:97]
	v_fmac_f64_e32 v[100:101], s[16:17], v[38:39]
	v_mul_f64 v[26:27], v[26:27], s[28:29]
	v_add_f64 v[56:57], v[96:97], v[56:57]
	v_add_f64 v[96:97], v[100:101], v[104:105]
	v_fma_f64 v[100:101], s[30:31], v[36:37], v[26:27]
	v_mul_f64 v[24:25], v[24:25], s[28:29]
	v_fma_f64 v[26:27], v[36:37], s[30:31], -v[26:27]
	v_fma_f64 v[104:105], v[38:39], s[30:31], -v[24:25]
	v_add_f64 v[26:27], v[26:27], v[30:31]
	v_fmac_f64_e32 v[24:25], s[30:31], v[38:39]
	v_add_f64 v[30:31], v[22:23], v[18:19]
	v_add_f64 v[18:19], v[18:19], -v[22:23]
	v_add_f64 v[24:25], v[24:25], v[28:29]
	v_add_f64 v[28:29], v[20:21], v[16:17]
	v_add_f64 v[16:17], v[16:17], -v[20:21]
	v_mul_f64 v[20:21], v[18:19], s[28:29]
	v_fma_f64 v[22:23], s[30:31], v[28:29], v[20:21]
	v_add_f64 v[22:23], v[22:23], v[34:35]
	v_mul_f64 v[34:35], v[16:17], s[28:29]
	v_fma_f64 v[36:37], v[30:31], s[30:31], -v[34:35]
	v_fma_f64 v[20:21], v[28:29], s[30:31], -v[20:21]
	v_fmac_f64_e32 v[34:35], s[30:31], v[30:31]
	v_add_f64 v[20:21], v[20:21], v[32:33]
	v_add_f64 v[32:33], v[34:35], v[40:41]
	v_mul_f64 v[34:35], v[18:19], s[44:45]
	v_fma_f64 v[38:39], s[26:27], v[28:29], v[34:35]
	v_fma_f64 v[34:35], v[28:29], s[26:27], -v[34:35]
	v_add_f64 v[34:35], v[34:35], v[42:43]
	v_mul_f64 v[42:43], v[18:19], s[6:7]
	v_add_f64 v[38:39], v[38:39], v[46:47]
	v_mul_f64 v[40:41], v[16:17], s[44:45]
	v_fma_f64 v[46:47], s[16:17], v[28:29], v[42:43]
	v_fma_f64 v[42:43], v[28:29], s[16:17], -v[42:43]
	v_add_f64 v[36:37], v[36:37], v[44:45]
	v_fma_f64 v[44:45], v[30:31], s[26:27], -v[40:41]
	v_fmac_f64_e32 v[40:41], s[26:27], v[30:31]
	v_add_f64 v[42:43], v[42:43], v[50:51]
	v_mul_f64 v[50:51], v[18:19], s[34:35]
	v_add_f64 v[40:41], v[40:41], v[48:49]
	v_add_f64 v[46:47], v[46:47], v[54:55]
	v_mul_f64 v[48:49], v[16:17], s[6:7]
	v_fma_f64 v[54:55], s[38:39], v[28:29], v[50:51]
	v_fma_f64 v[50:51], v[28:29], s[38:39], -v[50:51]
	v_add_f64 v[44:45], v[44:45], v[52:53]
	v_fma_f64 v[52:53], v[30:31], s[16:17], -v[48:49]
	v_fmac_f64_e32 v[48:49], s[16:17], v[30:31]
	v_add_f64 v[50:51], v[50:51], v[62:63]
	v_mul_f64 v[62:63], v[18:19], s[58:59]
	v_add_f64 v[48:49], v[48:49], v[60:61]
	;; [unrolled: 10-line block ×4, first 2 shown]
	v_add_f64 v[78:79], v[78:79], v[86:87]
	v_add_f64 v[84:85], v[84:85], v[92:93]
	v_mul_f64 v[86:87], v[16:17], s[8:9]
	v_fma_f64 v[92:93], s[42:43], v[28:29], v[90:91]
	v_add_f64 v[118:119], v[118:119], v[126:127]
	v_add_f64 v[120:121], v[120:121], v[128:129]
	;; [unrolled: 1-line block ×4, first 2 shown]
	v_fma_f64 v[88:89], v[30:31], s[18:19], -v[86:87]
	v_fmac_f64_e32 v[86:87], s[18:19], v[30:31]
	v_add_f64 v[58:59], v[92:93], v[58:59]
	v_mul_f64 v[92:93], v[16:17], s[40:41]
	v_fma_f64 v[90:91], v[28:29], s[42:43], -v[90:91]
	v_mul_f64 v[18:19], v[18:19], s[48:49]
	v_add_f64 v[106:107], v[106:107], v[118:119]
	v_add_f64 v[110:111], v[110:111], v[120:121]
	;; [unrolled: 1-line block ×4, first 2 shown]
	v_fma_f64 v[94:95], v[30:31], s[42:43], -v[92:93]
	v_add_f64 v[90:91], v[90:91], v[56:57]
	v_fmac_f64_e32 v[92:93], s[42:43], v[30:31]
	v_fma_f64 v[56:57], s[20:21], v[28:29], v[18:19]
	v_mul_f64 v[16:17], v[16:17], s[48:49]
	v_add_f64 v[130:131], v[130:131], v[132:133]
	v_add_f64 v[98:99], v[98:99], v[106:107]
	;; [unrolled: 1-line block ×5, first 2 shown]
	v_fma_f64 v[56:57], v[30:31], s[20:21], -v[16:17]
	v_add_f64 v[110:111], v[10:11], -v[14:15]
	v_add_f64 v[122:123], v[122:123], v[130:131]
	v_add_f64 v[88:89], v[88:89], v[98:99]
	v_add_f64 v[98:99], v[56:57], v[104:105]
	v_add_f64 v[104:105], v[12:13], v[8:9]
	v_add_f64 v[108:109], v[8:9], -v[12:13]
	v_mul_f64 v[12:13], v[110:111], s[34:35]
	v_add_f64 v[116:117], v[116:117], v[122:123]
	v_fma_f64 v[8:9], s[38:39], v[104:105], v[12:13]
	v_fma_f64 v[12:13], v[104:105], s[38:39], -v[12:13]
	v_add_f64 v[102:103], v[102:103], v[116:117]
	v_fmac_f64_e32 v[16:17], s[20:21], v[30:31]
	v_add_f64 v[12:13], v[12:13], v[20:21]
	v_mul_f64 v[20:21], v[110:111], s[48:49]
	v_add_f64 v[94:95], v[94:95], v[102:103]
	v_fma_f64 v[18:19], v[28:29], s[20:21], -v[18:19]
	v_add_f64 v[102:103], v[16:17], v[24:25]
	v_add_f64 v[106:107], v[14:15], v[10:11]
	;; [unrolled: 1-line block ×3, first 2 shown]
	v_mul_f64 v[14:15], v[108:109], s[34:35]
	v_fma_f64 v[16:17], s[20:21], v[104:105], v[20:21]
	v_mul_f64 v[22:23], v[108:109], s[48:49]
	v_mul_f64 v[28:29], v[110:111], s[14:15]
	v_add_f64 v[100:101], v[18:19], v[26:27]
	v_fma_f64 v[10:11], v[106:107], s[38:39], -v[14:15]
	v_add_f64 v[16:17], v[16:17], v[38:39]
	v_fma_f64 v[18:19], v[106:107], s[20:21], -v[22:23]
	v_fma_f64 v[20:21], v[104:105], s[20:21], -v[20:21]
	v_fma_f64 v[24:25], s[22:23], v[104:105], v[28:29]
	v_mul_f64 v[38:39], v[108:109], s[56:57]
	v_add_f64 v[10:11], v[10:11], v[36:37]
	v_fmac_f64_e32 v[14:15], s[38:39], v[106:107]
	v_add_f64 v[18:19], v[18:19], v[44:45]
	v_add_f64 v[20:21], v[20:21], v[34:35]
	v_fmac_f64_e32 v[22:23], s[20:21], v[106:107]
	v_add_f64 v[24:25], v[24:25], v[46:47]
	v_fma_f64 v[28:29], v[104:105], s[22:23], -v[28:29]
	v_mul_f64 v[36:37], v[110:111], s[56:57]
	v_fma_f64 v[34:35], v[106:107], s[30:31], -v[38:39]
	v_fmac_f64_e32 v[38:39], s[30:31], v[106:107]
	v_mul_f64 v[44:45], v[110:111], s[6:7]
	v_mul_f64 v[46:47], v[108:109], s[6:7]
	v_add_f64 v[14:15], v[14:15], v[32:33]
	v_add_f64 v[22:23], v[22:23], v[40:41]
	v_mul_f64 v[30:31], v[108:109], s[14:15]
	v_add_f64 v[28:29], v[28:29], v[42:43]
	v_fma_f64 v[32:33], s[30:31], v[104:105], v[36:37]
	v_add_f64 v[38:39], v[38:39], v[60:61]
	v_fma_f64 v[40:41], s[16:17], v[104:105], v[44:45]
	v_fma_f64 v[42:43], v[106:107], s[16:17], -v[46:47]
	v_fma_f64 v[44:45], v[104:105], s[16:17], -v[44:45]
	v_fmac_f64_e32 v[46:47], s[16:17], v[106:107]
	v_mul_f64 v[60:61], v[110:111], s[54:55]
	v_fma_f64 v[26:27], v[106:107], s[22:23], -v[30:31]
	v_add_f64 v[32:33], v[32:33], v[54:55]
	v_fma_f64 v[36:37], v[104:105], s[30:31], -v[36:37]
	v_add_f64 v[42:43], v[42:43], v[80:81]
	v_add_f64 v[44:45], v[44:45], v[62:63]
	v_add_f64 v[46:47], v[46:47], v[78:79]
	v_mul_f64 v[54:55], v[108:109], s[40:41]
	v_fma_f64 v[56:57], s[18:19], v[104:105], v[60:61]
	v_mul_f64 v[62:63], v[108:109], s[54:55]
	v_mul_f64 v[78:79], v[110:111], s[24:25]
	v_mul_f64 v[80:81], v[108:109], s[24:25]
	v_add_f64 v[26:27], v[26:27], v[52:53]
	v_fmac_f64_e32 v[30:31], s[22:23], v[106:107]
	v_add_f64 v[34:35], v[34:35], v[64:65]
	v_add_f64 v[36:37], v[36:37], v[50:51]
	;; [unrolled: 1-line block ×3, first 2 shown]
	v_mul_f64 v[52:53], v[110:111], s[40:41]
	v_fma_f64 v[50:51], v[106:107], s[42:43], -v[54:55]
	v_fmac_f64_e32 v[54:55], s[42:43], v[106:107]
	v_add_f64 v[56:57], v[56:57], v[58:59]
	v_fma_f64 v[58:59], v[106:107], s[18:19], -v[62:63]
	v_fmac_f64_e32 v[62:63], s[18:19], v[106:107]
	v_fma_f64 v[64:65], s[26:27], v[104:105], v[78:79]
	v_fma_f64 v[66:67], v[106:107], s[26:27], -v[80:81]
	v_fma_f64 v[78:79], v[104:105], s[26:27], -v[78:79]
	v_fmac_f64_e32 v[80:81], s[26:27], v[106:107]
	v_add_f64 v[106:107], v[2:3], -v[6:7]
	v_add_f64 v[30:31], v[30:31], v[48:49]
	v_fma_f64 v[48:49], s[42:43], v[104:105], v[52:53]
	v_fma_f64 v[52:53], v[104:105], s[42:43], -v[52:53]
	v_fma_f64 v[60:61], v[104:105], s[18:19], -v[60:61]
	v_add_f64 v[78:79], v[78:79], v[100:101]
	v_add_f64 v[100:101], v[4:5], v[0:1]
	v_add_f64 v[104:105], v[0:1], -v[4:5]
	v_mul_f64 v[0:1], v[106:107], s[40:41]
	v_add_f64 v[80:81], v[80:81], v[102:103]
	v_add_f64 v[102:103], v[6:7], v[2:3]
	v_fma_f64 v[2:3], s[42:43], v[100:101], v[0:1]
	v_add_f64 v[108:109], v[2:3], v[8:9]
	v_mul_f64 v[2:3], v[104:105], s[40:41]
	v_fma_f64 v[4:5], v[102:103], s[42:43], -v[2:3]
	v_fmac_f64_e32 v[2:3], s[42:43], v[102:103]
	v_add_f64 v[52:53], v[52:53], v[82:83]
	v_add_f64 v[82:83], v[2:3], v[14:15]
	v_mul_f64 v[2:3], v[106:107], s[50:51]
	v_add_f64 v[58:59], v[58:59], v[94:95]
	v_add_f64 v[94:95], v[4:5], v[10:11]
	v_fma_f64 v[4:5], s[16:17], v[100:101], v[2:3]
	v_add_f64 v[64:65], v[64:65], v[96:97]
	v_add_f64 v[96:97], v[4:5], v[16:17]
	v_mul_f64 v[4:5], v[104:105], s[50:51]
	v_fma_f64 v[6:7], v[102:103], s[16:17], -v[4:5]
	v_fmac_f64_e32 v[4:5], s[16:17], v[102:103]
	v_add_f64 v[48:49], v[48:49], v[84:85]
	v_add_f64 v[84:85], v[4:5], v[22:23]
	v_mul_f64 v[4:5], v[106:107], s[34:35]
	v_add_f64 v[50:51], v[50:51], v[88:89]
	v_add_f64 v[88:89], v[6:7], v[18:19]
	v_fma_f64 v[6:7], s[38:39], v[100:101], v[4:5]
	v_add_f64 v[66:67], v[66:67], v[98:99]
	;; [unrolled: 11-line block ×3, first 2 shown]
	v_mul_f64 v[8:9], v[104:105], s[54:55]
	v_fma_f64 v[10:11], v[102:103], s[18:19], -v[8:9]
	v_fmac_f64_e32 v[8:9], s[18:19], v[102:103]
	v_add_f64 v[32:33], v[8:9], v[38:39]
	v_mul_f64 v[8:9], v[106:107], s[28:29]
	v_add_f64 v[62:63], v[62:63], v[92:93]
	v_add_f64 v[92:93], v[10:11], v[34:35]
	v_fma_f64 v[10:11], s[30:31], v[100:101], v[8:9]
	v_fma_f64 v[0:1], v[100:101], s[42:43], -v[0:1]
	v_add_f64 v[24:25], v[10:11], v[40:41]
	v_mul_f64 v[10:11], v[104:105], s[28:29]
	v_add_f64 v[0:1], v[0:1], v[12:13]
	v_fma_f64 v[12:13], v[102:103], s[30:31], -v[10:11]
	v_fmac_f64_e32 v[10:11], s[30:31], v[102:103]
	v_add_f64 v[34:35], v[10:11], v[46:47]
	v_mul_f64 v[10:11], v[106:107], s[48:49]
	v_add_f64 v[38:39], v[12:13], v[42:43]
	v_fma_f64 v[12:13], s[20:21], v[100:101], v[10:11]
	v_add_f64 v[18:19], v[12:13], v[48:49]
	v_mul_f64 v[12:13], v[104:105], s[48:49]
	v_fma_f64 v[6:7], v[100:101], s[18:19], -v[6:7]
	v_fma_f64 v[14:15], v[102:103], s[20:21], -v[12:13]
	v_fmac_f64_e32 v[12:13], s[20:21], v[102:103]
	v_add_f64 v[6:7], v[6:7], v[36:37]
	v_add_f64 v[36:37], v[12:13], v[54:55]
	v_mul_f64 v[12:13], v[106:107], s[24:25]
	v_fma_f64 v[2:3], v[100:101], s[16:17], -v[2:3]
	v_add_f64 v[40:41], v[14:15], v[50:51]
	v_fma_f64 v[14:15], s[26:27], v[100:101], v[12:13]
	v_mul_u32_u24_e32 v71, 0x242, v71
	v_add_f64 v[2:3], v[2:3], v[20:21]
	v_fma_f64 v[4:5], v[100:101], s[38:39], -v[4:5]
	v_add_f64 v[20:21], v[14:15], v[56:57]
	v_mul_f64 v[14:15], v[104:105], s[24:25]
	v_mul_f64 v[26:27], v[104:105], s[58:59]
	v_add_f64 v[4:5], v[4:5], v[28:29]
	v_fma_f64 v[8:9], v[100:101], s[30:31], -v[8:9]
	v_fma_f64 v[16:17], v[102:103], s[26:27], -v[14:15]
	;; [unrolled: 1-line block ×3, first 2 shown]
	v_fmac_f64_e32 v[26:27], s[22:23], v[102:103]
	v_lshlrev_b32_e32 v104, 3, v71
	s_load_dwordx2 s[36:37], s[2:3], 0x0
	v_add_f64 v[8:9], v[8:9], v[44:45]
	v_add_f64 v[44:45], v[16:17], v[58:59]
	v_fmac_f64_e32 v[14:15], s[26:27], v[102:103]
	v_mul_f64 v[16:17], v[106:107], s[58:59]
	v_add_f64 v[48:49], v[26:27], v[80:81]
	v_add_u32_e32 v26, 0, v104
	s_movk_i32 s2, 0x88
	v_fma_f64 v[10:11], v[100:101], s[20:21], -v[10:11]
	v_fma_f64 v[12:13], v[100:101], s[26:27], -v[12:13]
	v_add_f64 v[42:43], v[14:15], v[62:63]
	v_fma_f64 v[14:15], s[22:23], v[100:101], v[16:17]
	v_fma_f64 v[16:17], v[100:101], s[22:23], -v[16:17]
	v_mad_u32_u24 v50, v70, s2, v26
	v_add_f64 v[10:11], v[10:11], v[52:53]
	v_add_f64 v[12:13], v[12:13], v[60:61]
	;; [unrolled: 1-line block ×4, first 2 shown]
	ds_write2_b64 v50, v[76:77], v[108:109] offset1:1
	ds_write2_b64 v50, v[96:97], v[98:99] offset0:2 offset1:3
	ds_write2_b64 v50, v[22:23], v[24:25] offset0:4 offset1:5
	;; [unrolled: 1-line block ×7, first 2 shown]
	ds_write_b64 v50, v[0:1] offset:128
	v_lshlrev_b32_e32 v0, 3, v70
	v_add3_u32 v57, 0, v0, v104
	v_subrev_u32_e32 v56, 17, v70
	v_cmp_gt_u32_e32 vcc, 17, v70
	v_add_u32_e32 v71, v26, v0
	v_add_u32_e32 v114, 0x400, v57
	;; [unrolled: 1-line block ×4, first 2 shown]
	v_cndmask_b32_e32 v105, v56, v70, vcc
	v_add_f64 v[46:47], v[28:29], v[66:67]
	s_waitcnt lgkmcnt(0)
	s_barrier
	ds_read_b64 v[60:61], v71
	ds_read2_b64 v[28:31], v57 offset0:34 offset1:68
	ds_read2_b64 v[24:27], v57 offset0:102 offset1:136
	;; [unrolled: 1-line block ×8, first 2 shown]
	s_waitcnt lgkmcnt(0)
	s_barrier
	ds_write2_b64 v50, v[74:75], v[94:95] offset1:1
	ds_write2_b64 v50, v[88:89], v[90:91] offset0:2 offset1:3
	ds_write2_b64 v50, v[92:93], v[38:39] offset0:4 offset1:5
	;; [unrolled: 1-line block ×7, first 2 shown]
	ds_write_b64 v50, v[82:83] offset:128
	v_lshlrev_b32_e32 v32, 4, v105
	v_mov_b32_e32 v33, 0
	v_lshl_add_u64 v[48:49], v[32:33], 4, s[4:5]
	s_waitcnt lgkmcnt(0)
	s_barrier
	global_load_dwordx4 v[32:35], v[48:49], off
	global_load_dwordx4 v[36:39], v[48:49], off offset:16
	global_load_dwordx4 v[40:43], v[48:49], off offset:32
	;; [unrolled: 1-line block ×15, first 2 shown]
	ds_read2_b64 v[52:55], v57 offset0:34 offset1:68
	ds_read2_b64 v[140:143], v113 offset0:186 offset1:220
	v_cmp_lt_u32_e64 s[2:3], 16, v70
	s_waitcnt vmcnt(15) lgkmcnt(1)
	v_mul_f64 v[92:93], v[52:53], v[34:35]
	v_fmac_f64_e32 v[92:93], v[28:29], v[32:33]
	v_mul_f64 v[28:29], v[28:29], v[34:35]
	v_fma_f64 v[94:95], v[52:53], v[32:33], -v[28:29]
	ds_read2_b64 v[32:35], v57 offset0:102 offset1:136
	s_waitcnt vmcnt(14)
	v_mul_f64 v[84:85], v[54:55], v[38:39]
	v_mul_f64 v[28:29], v[30:31], v[38:39]
	v_fmac_f64_e32 v[84:85], v[30:31], v[36:37]
	v_fma_f64 v[86:87], v[54:55], v[36:37], -v[28:29]
	ds_read2_b64 v[28:31], v57 offset0:170 offset1:204
	s_waitcnt vmcnt(13) lgkmcnt(1)
	v_mul_f64 v[76:77], v[32:33], v[42:43]
	v_fmac_f64_e32 v[76:77], v[24:25], v[40:41]
	v_mul_f64 v[24:25], v[24:25], v[42:43]
	s_waitcnt vmcnt(12)
	v_mul_f64 v[66:67], v[34:35], v[46:47]
	v_fma_f64 v[78:79], v[32:33], v[40:41], -v[24:25]
	v_fmac_f64_e32 v[66:67], v[26:27], v[44:45]
	v_mul_f64 v[32:33], v[26:27], v[46:47]
	ds_read2_b64 v[24:27], v114 offset0:110 offset1:144
	s_waitcnt vmcnt(11) lgkmcnt(1)
	v_mul_f64 v[52:53], v[28:29], v[64:65]
	v_fmac_f64_e32 v[52:53], v[20:21], v[62:63]
	v_mul_f64 v[20:21], v[20:21], v[64:65]
	v_fma_f64 v[54:55], v[28:29], v[62:63], -v[20:21]
	s_waitcnt vmcnt(10)
	v_mul_f64 v[28:29], v[22:23], v[82:83]
	s_waitcnt vmcnt(9) lgkmcnt(0)
	v_mul_f64 v[36:37], v[24:25], v[90:91]
	v_fma_f64 v[74:75], v[34:35], v[44:45], -v[32:33]
	ds_read2_b64 v[40:43], v113 offset0:50 offset1:84
	v_mul_f64 v[44:45], v[30:31], v[82:83]
	v_fma_f64 v[46:47], v[30:31], v[80:81], -v[28:29]
	v_fmac_f64_e32 v[36:37], v[16:17], v[88:89]
	v_mul_f64 v[16:17], v[16:17], v[90:91]
	s_waitcnt vmcnt(8)
	v_mul_f64 v[28:29], v[26:27], v[98:99]
	v_fmac_f64_e32 v[44:45], v[22:23], v[80:81]
	ds_read2_b64 v[20:23], v113 offset0:118 offset1:152
	v_fma_f64 v[38:39], v[24:25], v[88:89], -v[16:17]
	v_fmac_f64_e32 v[28:29], v[18:19], v[96:97]
	v_mul_f64 v[24:25], v[18:19], v[98:99]
	ds_read2_b64 v[16:19], v51 offset0:126 offset1:160
	s_waitcnt vmcnt(3)
	v_mul_f64 v[80:81], v[140:141], v[126:127]
	v_fmac_f64_e32 v[80:81], v[0:1], v[124:125]
	v_mul_f64 v[0:1], v[0:1], v[126:127]
	v_fma_f64 v[82:83], v[140:141], v[124:125], -v[0:1]
	s_waitcnt vmcnt(2)
	v_mul_f64 v[0:1], v[2:3], v[130:131]
	s_waitcnt lgkmcnt(2)
	v_mul_f64 v[32:33], v[40:41], v[102:103]
	v_fma_f64 v[90:91], v[142:143], v[128:129], -v[0:1]
	s_waitcnt vmcnt(1)
	v_mul_f64 v[0:1], v[4:5], v[134:135]
	v_fmac_f64_e32 v[32:33], v[12:13], v[100:101]
	v_mul_f64 v[12:13], v[12:13], v[102:103]
	s_waitcnt lgkmcnt(1)
	v_mul_f64 v[48:49], v[20:21], v[118:119]
	s_waitcnt lgkmcnt(0)
	v_fma_f64 v[98:99], v[16:17], v[132:133], -v[0:1]
	s_waitcnt vmcnt(0)
	v_mul_f64 v[0:1], v[6:7], v[138:139]
	v_fma_f64 v[34:35], v[40:41], v[100:101], -v[12:13]
	v_fmac_f64_e32 v[48:49], v[8:9], v[116:117]
	v_mul_f64 v[8:9], v[8:9], v[118:119]
	v_mul_f64 v[88:89], v[142:143], v[130:131]
	;; [unrolled: 1-line block ×3, first 2 shown]
	v_fma_f64 v[102:103], v[18:19], v[136:137], -v[0:1]
	v_fma_f64 v[30:31], v[26:27], v[96:97], -v[24:25]
	v_mul_f64 v[12:13], v[14:15], v[108:109]
	v_fma_f64 v[50:51], v[20:21], v[116:117], -v[8:9]
	v_mul_f64 v[8:9], v[10:11], v[122:123]
	v_fmac_f64_e32 v[88:89], v[2:3], v[128:129]
	v_mul_f64 v[96:97], v[16:17], v[134:135]
	v_fmac_f64_e32 v[100:101], v[6:7], v[136:137]
	v_add_f64 v[2:3], v[94:95], -v[102:103]
	v_mul_f64 v[40:41], v[42:43], v[108:109]
	v_fma_f64 v[42:43], v[42:43], v[106:107], -v[12:13]
	v_mul_f64 v[62:63], v[22:23], v[122:123]
	v_fma_f64 v[64:65], v[22:23], v[120:121], -v[8:9]
	v_fmac_f64_e32 v[96:97], v[4:5], v[132:133]
	v_add_f64 v[0:1], v[92:93], v[100:101]
	v_mul_f64 v[4:5], v[2:3], s[6:7]
	v_mul_f64 v[8:9], v[2:3], s[8:9]
	;; [unrolled: 1-line block ×8, first 2 shown]
	v_add_f64 v[110:111], v[86:87], -v[98:99]
	v_fmac_f64_e32 v[40:41], v[14:15], v[106:107]
	v_fmac_f64_e32 v[62:63], v[10:11], v[120:121]
	v_fma_f64 v[6:7], s[16:17], v[0:1], v[4:5]
	v_fma_f64 v[4:5], v[0:1], s[16:17], -v[4:5]
	v_fma_f64 v[10:11], s[18:19], v[0:1], v[8:9]
	v_fma_f64 v[8:9], v[0:1], s[18:19], -v[8:9]
	;; [unrolled: 2-line block ×8, first 2 shown]
	v_add_f64 v[2:3], v[84:85], v[96:97]
	v_mul_f64 v[116:117], v[110:111], s[8:9]
	v_add_f64 v[4:5], v[60:61], v[4:5]
	v_fma_f64 v[118:119], s[18:19], v[2:3], v[116:117]
	v_fma_f64 v[116:117], v[2:3], s[18:19], -v[116:117]
	v_add_f64 v[6:7], v[60:61], v[6:7]
	v_add_f64 v[4:5], v[116:117], v[4:5]
	v_mul_f64 v[116:117], v[110:111], s[14:15]
	v_add_f64 v[8:9], v[60:61], v[8:9]
	v_add_f64 v[6:7], v[118:119], v[6:7]
	v_fma_f64 v[118:119], s[22:23], v[2:3], v[116:117]
	v_fma_f64 v[116:117], v[2:3], s[22:23], -v[116:117]
	v_add_f64 v[10:11], v[60:61], v[10:11]
	v_add_f64 v[8:9], v[116:117], v[8:9]
	v_mul_f64 v[116:117], v[110:111], s[28:29]
	v_add_f64 v[12:13], v[60:61], v[12:13]
	;; [unrolled: 7-line block ×6, first 2 shown]
	v_add_f64 v[26:27], v[118:119], v[26:27]
	v_fma_f64 v[118:119], s[20:21], v[2:3], v[116:117]
	v_fma_f64 v[116:117], v[2:3], s[20:21], -v[116:117]
	v_mul_f64 v[110:111], v[110:111], s[50:51]
	v_add_f64 v[108:109], v[60:61], v[108:109]
	v_add_f64 v[0:1], v[60:61], v[0:1]
	v_add_f64 v[58:59], v[116:117], v[58:59]
	v_fma_f64 v[116:117], s[16:17], v[2:3], v[110:111]
	v_fma_f64 v[2:3], v[2:3], s[16:17], -v[110:111]
	v_add_f64 v[110:111], v[78:79], -v[90:91]
	v_add_f64 v[106:107], v[60:61], v[106:107]
	v_add_f64 v[108:109], v[116:117], v[108:109]
	;; [unrolled: 1-line block ×4, first 2 shown]
	v_mul_f64 v[116:117], v[110:111], s[12:13]
	v_add_f64 v[106:107], v[118:119], v[106:107]
	v_fma_f64 v[118:119], s[20:21], v[2:3], v[116:117]
	v_fma_f64 v[116:117], v[2:3], s[20:21], -v[116:117]
	v_add_f64 v[4:5], v[116:117], v[4:5]
	v_mul_f64 v[116:117], v[110:111], s[28:29]
	v_add_f64 v[6:7], v[118:119], v[6:7]
	v_fma_f64 v[118:119], s[30:31], v[2:3], v[116:117]
	v_fma_f64 v[116:117], v[2:3], s[30:31], -v[116:117]
	v_add_f64 v[8:9], v[116:117], v[8:9]
	v_mul_f64 v[116:117], v[110:111], s[52:53]
	v_add_f64 v[10:11], v[118:119], v[10:11]
	v_fma_f64 v[118:119], s[42:43], v[2:3], v[116:117]
	v_fma_f64 v[116:117], v[2:3], s[42:43], -v[116:117]
	v_add_f64 v[12:13], v[116:117], v[12:13]
	v_mul_f64 v[116:117], v[110:111], s[44:45]
	v_add_f64 v[14:15], v[118:119], v[14:15]
	v_fma_f64 v[118:119], s[26:27], v[2:3], v[116:117]
	v_fma_f64 v[116:117], v[2:3], s[26:27], -v[116:117]
	v_add_f64 v[16:17], v[116:117], v[16:17]
	v_mul_f64 v[116:117], v[110:111], s[54:55]
	v_add_f64 v[18:19], v[118:119], v[18:19]
	v_fma_f64 v[118:119], s[18:19], v[2:3], v[116:117]
	v_fma_f64 v[116:117], v[2:3], s[18:19], -v[116:117]
	v_add_f64 v[20:21], v[116:117], v[20:21]
	v_mul_f64 v[116:117], v[110:111], s[6:7]
	v_add_f64 v[22:23], v[118:119], v[22:23]
	v_fma_f64 v[118:119], s[16:17], v[2:3], v[116:117]
	v_fma_f64 v[116:117], v[2:3], s[16:17], -v[116:117]
	v_add_f64 v[24:25], v[116:117], v[24:25]
	v_mul_f64 v[116:117], v[110:111], s[14:15]
	v_add_f64 v[26:27], v[118:119], v[26:27]
	v_fma_f64 v[118:119], s[22:23], v[2:3], v[116:117]
	v_fma_f64 v[116:117], v[2:3], s[22:23], -v[116:117]
	v_mul_f64 v[110:111], v[110:111], s[34:35]
	v_add_f64 v[58:59], v[116:117], v[58:59]
	v_fma_f64 v[116:117], s[38:39], v[2:3], v[110:111]
	v_fma_f64 v[2:3], v[2:3], s[38:39], -v[110:111]
	v_add_f64 v[110:111], v[74:75], -v[82:83]
	v_add_f64 v[108:109], v[116:117], v[108:109]
	v_add_f64 v[0:1], v[2:3], v[0:1]
	v_add_f64 v[2:3], v[66:67], v[80:81]
	v_mul_f64 v[116:117], v[110:111], s[14:15]
	v_add_f64 v[106:107], v[118:119], v[106:107]
	v_fma_f64 v[118:119], s[22:23], v[2:3], v[116:117]
	v_fma_f64 v[116:117], v[2:3], s[22:23], -v[116:117]
	v_add_f64 v[4:5], v[116:117], v[4:5]
	v_mul_f64 v[116:117], v[110:111], s[40:41]
	v_add_f64 v[6:7], v[118:119], v[6:7]
	v_fma_f64 v[118:119], s[42:43], v[2:3], v[116:117]
	v_fma_f64 v[116:117], v[2:3], s[42:43], -v[116:117]
	v_add_f64 v[8:9], v[116:117], v[8:9]
	v_mul_f64 v[116:117], v[110:111], s[44:45]
	v_add_f64 v[10:11], v[118:119], v[10:11]
	v_fma_f64 v[118:119], s[26:27], v[2:3], v[116:117]
	v_fma_f64 v[116:117], v[2:3], s[26:27], -v[116:117]
	v_add_f64 v[12:13], v[116:117], v[12:13]
	v_mul_f64 v[116:117], v[110:111], s[50:51]
	v_add_f64 v[14:15], v[118:119], v[14:15]
	v_fma_f64 v[118:119], s[16:17], v[2:3], v[116:117]
	v_fma_f64 v[116:117], v[2:3], s[16:17], -v[116:117]
	v_add_f64 v[16:17], v[116:117], v[16:17]
	v_mul_f64 v[116:117], v[110:111], s[12:13]
	v_add_f64 v[18:19], v[118:119], v[18:19]
	v_fma_f64 v[118:119], s[20:21], v[2:3], v[116:117]
	v_fma_f64 v[116:117], v[2:3], s[20:21], -v[116:117]
	v_add_f64 v[20:21], v[116:117], v[20:21]
	v_mul_f64 v[116:117], v[110:111], s[34:35]
	v_add_f64 v[22:23], v[118:119], v[22:23]
	v_fma_f64 v[118:119], s[38:39], v[2:3], v[116:117]
	v_fma_f64 v[116:117], v[2:3], s[38:39], -v[116:117]
	v_add_f64 v[24:25], v[116:117], v[24:25]
	v_mul_f64 v[116:117], v[110:111], s[56:57]
	v_add_f64 v[26:27], v[118:119], v[26:27]
	v_fma_f64 v[118:119], s[30:31], v[2:3], v[116:117]
	v_fma_f64 v[116:117], v[2:3], s[30:31], -v[116:117]
	v_mul_f64 v[110:111], v[110:111], s[54:55]
	v_add_f64 v[58:59], v[116:117], v[58:59]
	v_fma_f64 v[116:117], s[18:19], v[2:3], v[110:111]
	v_fma_f64 v[2:3], v[2:3], s[18:19], -v[110:111]
	v_add_f64 v[110:111], v[54:55], -v[64:65]
	v_add_f64 v[108:109], v[116:117], v[108:109]
	v_add_f64 v[0:1], v[2:3], v[0:1]
	v_add_f64 v[2:3], v[52:53], v[62:63]
	;; [unrolled: 42-line block ×4, first 2 shown]
	v_mul_f64 v[116:117], v[110:111], s[34:35]
	v_add_f64 v[106:107], v[118:119], v[106:107]
	v_fma_f64 v[118:119], s[38:39], v[2:3], v[116:117]
	v_fma_f64 v[116:117], v[2:3], s[38:39], -v[116:117]
	v_add_f64 v[4:5], v[116:117], v[4:5]
	v_mul_f64 v[116:117], v[110:111], s[48:49]
	v_add_f64 v[6:7], v[118:119], v[6:7]
	v_fma_f64 v[118:119], s[20:21], v[2:3], v[116:117]
	v_fma_f64 v[116:117], v[2:3], s[20:21], -v[116:117]
	v_add_f64 v[8:9], v[116:117], v[8:9]
	;; [unrolled: 5-line block ×7, first 2 shown]
	v_mul_f64 v[58:59], v[110:111], s[24:25]
	v_fma_f64 v[110:111], s[26:27], v[2:3], v[58:59]
	v_fma_f64 v[2:3], v[2:3], s[26:27], -v[58:59]
	v_add_f64 v[122:123], v[30:31], -v[34:35]
	v_add_f64 v[106:107], v[118:119], v[106:107]
	v_add_f64 v[118:119], v[2:3], v[0:1]
	;; [unrolled: 1-line block ×3, first 2 shown]
	v_mul_f64 v[0:1], v[122:123], s[40:41]
	v_fma_f64 v[2:3], s[42:43], v[120:121], v[0:1]
	v_fma_f64 v[0:1], v[120:121], s[42:43], -v[0:1]
	v_add_f64 v[58:59], v[0:1], v[4:5]
	v_mul_f64 v[0:1], v[122:123], s[50:51]
	v_add_f64 v[124:125], v[2:3], v[6:7]
	v_fma_f64 v[2:3], s[16:17], v[120:121], v[0:1]
	v_add_f64 v[126:127], v[2:3], v[10:11]
	v_mul_f64 v[2:3], v[122:123], s[34:35]
	v_fma_f64 v[4:5], s[38:39], v[120:121], v[2:3]
	v_add_f64 v[128:129], v[4:5], v[14:15]
	v_mul_f64 v[4:5], v[122:123], s[54:55]
	v_fma_f64 v[6:7], s[18:19], v[120:121], v[4:5]
	v_fma_f64 v[0:1], v[120:121], s[16:17], -v[0:1]
	v_add_f64 v[18:19], v[6:7], v[18:19]
	v_mul_f64 v[6:7], v[122:123], s[28:29]
	v_add_f64 v[0:1], v[0:1], v[8:9]
	v_fma_f64 v[4:5], v[120:121], s[18:19], -v[4:5]
	v_fma_f64 v[8:9], s[30:31], v[120:121], v[6:7]
	v_add_f64 v[4:5], v[4:5], v[16:17]
	v_add_f64 v[16:17], v[8:9], v[22:23]
	v_mul_f64 v[8:9], v[122:123], s[48:49]
	v_fma_f64 v[6:7], v[120:121], s[30:31], -v[6:7]
	v_fma_f64 v[10:11], s[20:21], v[120:121], v[8:9]
	v_fma_f64 v[2:3], v[120:121], s[38:39], -v[2:3]
	v_add_f64 v[6:7], v[6:7], v[20:21]
	v_add_f64 v[20:21], v[10:11], v[26:27]
	v_mul_f64 v[10:11], v[122:123], s[24:25]
	v_add_f64 v[2:3], v[2:3], v[12:13]
	v_fma_f64 v[12:13], s[26:27], v[120:121], v[10:11]
	v_add_f64 v[22:23], v[12:13], v[106:107]
	v_add_f64 v[12:13], v[60:61], v[92:93]
	;; [unrolled: 1-line block ×15, first 2 shown]
	v_mov_b32_e32 v26, 0x908
	v_fma_f64 v[8:9], v[120:121], s[20:21], -v[8:9]
	v_add_f64 v[12:13], v[12:13], v[96:97]
	v_mul_f64 v[14:15], v[122:123], s[58:59]
	v_cndmask_b32_e64 v26, 0, v26, s[2:3]
	v_add_f64 v[110:111], v[110:111], v[108:109]
	v_add_f64 v[8:9], v[8:9], v[24:25]
	;; [unrolled: 1-line block ×3, first 2 shown]
	v_fma_f64 v[10:11], v[120:121], s[26:27], -v[10:11]
	v_fma_f64 v[12:13], s[22:23], v[120:121], v[14:15]
	v_fma_f64 v[14:15], v[120:121], s[22:23], -v[14:15]
	v_add_u32_e32 v26, 0, v26
	v_lshlrev_b32_e32 v27, 3, v105
	v_add_f64 v[10:11], v[10:11], v[116:117]
	v_add_f64 v[12:13], v[12:13], v[110:111]
	;; [unrolled: 1-line block ×3, first 2 shown]
	v_add3_u32 v115, v26, v27, v104
	ds_read_b64 v[108:109], v71
	s_waitcnt lgkmcnt(0)
	s_barrier
	ds_write2_b64 v115, v[24:25], v[124:125] offset1:17
	ds_write2_b64 v115, v[126:127], v[128:129] offset0:34 offset1:51
	ds_write2_b64 v115, v[18:19], v[16:17] offset0:68 offset1:85
	;; [unrolled: 1-line block ×7, first 2 shown]
	ds_write_b64 v115, v[58:59] offset:2176
	s_waitcnt lgkmcnt(0)
	s_barrier
	ds_read2_b64 v[8:11], v114 offset0:110 offset1:161
	ds_read2_b64 v[0:3], v57 offset0:34 offset1:68
	;; [unrolled: 1-line block ×7, first 2 shown]
	ds_read_b64 v[104:105], v71
	ds_read_b64 v[106:107], v57 offset:4216
                                        ; implicit-def: $vgpr60_vgpr61
	s_and_saveexec_b64 s[2:3], vcc
	s_cbranch_execz .LBB0_14
; %bb.13:
	ds_read_b64 v[58:59], v57 offset:2176
	ds_read_b64 v[60:61], v57 offset:4488
.LBB0_14:
	s_or_b64 exec, exec, s[2:3]
	v_add_f64 v[110:111], v[108:109], v[94:95]
	v_add_f64 v[110:111], v[110:111], v[86:87]
	;; [unrolled: 1-line block ×15, first 2 shown]
	v_add_f64 v[92:93], v[92:93], -v[100:101]
	v_mul_f64 v[100:101], v[94:95], s[16:17]
	v_mul_f64 v[116:117], v[94:95], s[18:19]
	;; [unrolled: 1-line block ×8, first 2 shown]
	v_add_f64 v[110:111], v[110:111], v[98:99]
	v_fma_f64 v[140:141], s[52:53], v[92:93], v[94:95]
	v_fmac_f64_e32 v[94:95], s[40:41], v[92:93]
	v_add_f64 v[86:87], v[86:87], v[98:99]
	v_add_f64 v[110:111], v[110:111], v[102:103]
	v_fma_f64 v[102:103], s[50:51], v[92:93], v[100:101]
	v_fmac_f64_e32 v[100:101], s[6:7], v[92:93]
	v_fma_f64 v[118:119], s[54:55], v[92:93], v[116:117]
	v_fmac_f64_e32 v[116:117], s[8:9], v[92:93]
	;; [unrolled: 2-line block ×7, first 2 shown]
	v_add_f64 v[92:93], v[108:109], v[94:95]
	v_add_f64 v[84:85], v[84:85], -v[96:97]
	v_mul_f64 v[94:95], v[86:87], s[18:19]
	v_add_f64 v[102:103], v[108:109], v[102:103]
	v_add_f64 v[100:101], v[108:109], v[100:101]
	v_fma_f64 v[96:97], s[54:55], v[84:85], v[94:95]
	v_fmac_f64_e32 v[94:95], s[8:9], v[84:85]
	v_mul_f64 v[98:99], v[86:87], s[22:23]
	v_add_f64 v[116:117], v[108:109], v[116:117]
	v_add_f64 v[96:97], v[96:97], v[102:103]
	;; [unrolled: 1-line block ×3, first 2 shown]
	v_fma_f64 v[100:101], s[58:59], v[84:85], v[98:99]
	v_fmac_f64_e32 v[98:99], s[14:15], v[84:85]
	v_mul_f64 v[102:103], v[86:87], s[30:31]
	v_add_f64 v[118:119], v[108:109], v[118:119]
	v_add_f64 v[122:123], v[108:109], v[122:123]
	;; [unrolled: 1-line block ×13, first 2 shown]
	v_fma_f64 v[108:109], s[56:57], v[84:85], v[102:103]
	v_fmac_f64_e32 v[102:103], s[28:29], v[84:85]
	v_mul_f64 v[116:117], v[86:87], s[42:43]
	v_add_f64 v[100:101], v[100:101], v[118:119]
	v_add_f64 v[102:103], v[102:103], v[120:121]
	v_fma_f64 v[118:119], s[52:53], v[84:85], v[116:117]
	v_fmac_f64_e32 v[116:117], s[40:41], v[84:85]
	v_mul_f64 v[120:121], v[86:87], s[38:39]
	v_add_f64 v[108:109], v[108:109], v[122:123]
	v_add_f64 v[116:117], v[116:117], v[124:125]
	;; [unrolled: 5-line block ×3, first 2 shown]
	v_fma_f64 v[126:127], s[24:25], v[84:85], v[124:125]
	v_fmac_f64_e32 v[124:125], s[44:45], v[84:85]
	v_mul_f64 v[128:129], v[86:87], s[20:21]
	v_mul_f64 v[86:87], v[86:87], s[16:17]
	v_add_f64 v[124:125], v[124:125], v[132:133]
	v_fma_f64 v[132:133], s[6:7], v[84:85], v[86:87]
	v_fmac_f64_e32 v[86:87], s[50:51], v[84:85]
	v_add_f64 v[78:79], v[78:79], v[90:91]
	v_add_f64 v[122:123], v[122:123], v[130:131]
	v_fma_f64 v[130:131], s[12:13], v[84:85], v[128:129]
	v_fmac_f64_e32 v[128:129], s[48:49], v[84:85]
	v_add_f64 v[84:85], v[86:87], v[92:93]
	v_add_f64 v[76:77], v[76:77], -v[88:89]
	v_mul_f64 v[86:87], v[78:79], s[20:21]
	v_fma_f64 v[88:89], s[48:49], v[76:77], v[86:87]
	v_fmac_f64_e32 v[86:87], s[12:13], v[76:77]
	v_mul_f64 v[90:91], v[78:79], s[30:31]
	v_add_f64 v[86:87], v[86:87], v[94:95]
	v_fma_f64 v[92:93], s[56:57], v[76:77], v[90:91]
	v_fmac_f64_e32 v[90:91], s[28:29], v[76:77]
	v_mul_f64 v[94:95], v[78:79], s[42:43]
	v_add_f64 v[88:89], v[88:89], v[96:97]
	v_add_f64 v[90:91], v[90:91], v[98:99]
	v_fma_f64 v[96:97], s[40:41], v[76:77], v[94:95]
	v_fmac_f64_e32 v[94:95], s[52:53], v[76:77]
	v_mul_f64 v[98:99], v[78:79], s[26:27]
	v_add_f64 v[92:93], v[92:93], v[100:101]
	;; [unrolled: 5-line block ×4, first 2 shown]
	v_add_f64 v[102:103], v[102:103], v[120:121]
	v_fma_f64 v[118:119], s[50:51], v[76:77], v[116:117]
	v_fmac_f64_e32 v[116:117], s[6:7], v[76:77]
	v_mul_f64 v[120:121], v[78:79], s[22:23]
	v_mul_f64 v[78:79], v[78:79], s[38:39]
	v_add_f64 v[116:117], v[116:117], v[124:125]
	v_fma_f64 v[124:125], s[46:47], v[76:77], v[78:79]
	v_fmac_f64_e32 v[78:79], s[34:35], v[76:77]
	v_add_f64 v[74:75], v[74:75], v[82:83]
	v_add_f64 v[108:109], v[108:109], v[122:123]
	v_fma_f64 v[122:123], s[58:59], v[76:77], v[120:121]
	v_fmac_f64_e32 v[120:121], s[14:15], v[76:77]
	v_add_f64 v[76:77], v[78:79], v[84:85]
	v_add_f64 v[66:67], v[66:67], -v[80:81]
	v_mul_f64 v[78:79], v[74:75], s[22:23]
	v_fma_f64 v[80:81], s[58:59], v[66:67], v[78:79]
	v_fmac_f64_e32 v[78:79], s[14:15], v[66:67]
	v_mul_f64 v[82:83], v[74:75], s[42:43]
	v_add_f64 v[78:79], v[78:79], v[86:87]
	v_fma_f64 v[84:85], s[52:53], v[66:67], v[82:83]
	v_fmac_f64_e32 v[82:83], s[40:41], v[66:67]
	v_mul_f64 v[86:87], v[74:75], s[26:27]
	v_add_f64 v[80:81], v[80:81], v[88:89]
	v_add_f64 v[82:83], v[82:83], v[90:91]
	v_fma_f64 v[88:89], s[24:25], v[66:67], v[86:87]
	v_fmac_f64_e32 v[86:87], s[44:45], v[66:67]
	v_mul_f64 v[90:91], v[74:75], s[16:17]
	v_add_f64 v[84:85], v[84:85], v[92:93]
	;; [unrolled: 5-line block ×4, first 2 shown]
	v_add_f64 v[94:95], v[94:95], v[102:103]
	v_fma_f64 v[100:101], s[46:47], v[66:67], v[98:99]
	v_fmac_f64_e32 v[98:99], s[34:35], v[66:67]
	v_mul_f64 v[102:103], v[74:75], s[30:31]
	v_mul_f64 v[74:75], v[74:75], s[18:19]
	v_add_f64 v[54:55], v[54:55], v[64:65]
	v_add_f64 v[98:99], v[98:99], v[116:117]
	v_fma_f64 v[116:117], s[8:9], v[66:67], v[74:75]
	v_fmac_f64_e32 v[74:75], s[54:55], v[66:67]
	v_add_f64 v[52:53], v[52:53], -v[62:63]
	v_mul_f64 v[62:63], v[54:55], s[26:27]
	v_add_f64 v[96:97], v[96:97], v[108:109]
	v_fma_f64 v[108:109], s[28:29], v[66:67], v[102:103]
	v_fmac_f64_e32 v[102:103], s[56:57], v[66:67]
	v_add_f64 v[66:67], v[74:75], v[76:77]
	v_fma_f64 v[64:65], s[44:45], v[52:53], v[62:63]
	v_fmac_f64_e32 v[62:63], s[24:25], v[52:53]
	v_mul_f64 v[74:75], v[54:55], s[38:39]
	v_add_f64 v[62:63], v[62:63], v[78:79]
	v_fma_f64 v[76:77], s[34:35], v[52:53], v[74:75]
	v_fmac_f64_e32 v[74:75], s[46:47], v[52:53]
	v_mul_f64 v[78:79], v[54:55], s[18:19]
	v_add_f64 v[64:65], v[64:65], v[80:81]
	v_add_f64 v[74:75], v[74:75], v[82:83]
	v_fma_f64 v[80:81], s[8:9], v[52:53], v[78:79]
	v_fmac_f64_e32 v[78:79], s[54:55], v[52:53]
	v_mul_f64 v[82:83], v[54:55], s[20:21]
	v_add_f64 v[76:77], v[76:77], v[84:85]
	;; [unrolled: 5-line block ×4, first 2 shown]
	v_add_f64 v[86:87], v[86:87], v[94:95]
	v_fma_f64 v[92:93], s[14:15], v[52:53], v[90:91]
	v_fmac_f64_e32 v[90:91], s[58:59], v[52:53]
	v_mul_f64 v[94:95], v[54:55], s[16:17]
	v_mul_f64 v[54:55], v[54:55], s[30:31]
	v_add_f64 v[46:47], v[46:47], v[50:51]
	v_add_f64 v[90:91], v[90:91], v[98:99]
	v_fma_f64 v[98:99], s[56:57], v[52:53], v[54:55]
	v_fmac_f64_e32 v[54:55], s[28:29], v[52:53]
	v_add_f64 v[44:45], v[44:45], -v[48:49]
	v_mul_f64 v[48:49], v[46:47], s[30:31]
	v_add_f64 v[88:89], v[88:89], v[96:97]
	v_fma_f64 v[96:97], s[50:51], v[52:53], v[94:95]
	v_fmac_f64_e32 v[94:95], s[6:7], v[52:53]
	v_add_f64 v[52:53], v[54:55], v[66:67]
	v_fma_f64 v[50:51], s[56:57], v[44:45], v[48:49]
	v_fmac_f64_e32 v[48:49], s[28:29], v[44:45]
	v_mul_f64 v[54:55], v[46:47], s[26:27]
	v_add_f64 v[50:51], v[50:51], v[64:65]
	v_add_f64 v[48:49], v[48:49], v[62:63]
	v_fma_f64 v[62:63], s[24:25], v[44:45], v[54:55]
	v_fmac_f64_e32 v[54:55], s[44:45], v[44:45]
	v_mul_f64 v[64:65], v[46:47], s[16:17]
	v_add_f64 v[54:55], v[54:55], v[74:75]
	v_fma_f64 v[66:67], s[50:51], v[44:45], v[64:65]
	v_fmac_f64_e32 v[64:65], s[6:7], v[44:45]
	v_mul_f64 v[74:75], v[46:47], s[38:39]
	v_add_f64 v[62:63], v[62:63], v[76:77]
	v_add_f64 v[64:65], v[64:65], v[78:79]
	v_fma_f64 v[76:77], s[46:47], v[44:45], v[74:75]
	v_fmac_f64_e32 v[74:75], s[34:35], v[44:45]
	v_mul_f64 v[78:79], v[46:47], s[22:23]
	v_add_f64 v[66:67], v[66:67], v[80:81]
	v_add_f64 v[74:75], v[74:75], v[82:83]
	v_fma_f64 v[80:81], s[14:15], v[44:45], v[78:79]
	v_fmac_f64_e32 v[78:79], s[58:59], v[44:45]
	v_mul_f64 v[82:83], v[46:47], s[18:19]
	v_add_f64 v[76:77], v[76:77], v[84:85]
	v_add_f64 v[78:79], v[78:79], v[86:87]
	v_fma_f64 v[84:85], s[54:55], v[44:45], v[82:83]
	v_fmac_f64_e32 v[82:83], s[8:9], v[44:45]
	v_mul_f64 v[86:87], v[46:47], s[42:43]
	v_mul_f64 v[46:47], v[46:47], s[20:21]
	v_add_f64 v[38:39], v[38:39], v[42:43]
	v_add_f64 v[82:83], v[82:83], v[90:91]
	v_fma_f64 v[90:91], s[12:13], v[44:45], v[46:47]
	v_fmac_f64_e32 v[46:47], s[48:49], v[44:45]
	v_add_f64 v[36:37], v[36:37], -v[40:41]
	v_mul_f64 v[40:41], v[38:39], s[38:39]
	v_add_f64 v[80:81], v[80:81], v[88:89]
	v_fma_f64 v[88:89], s[52:53], v[44:45], v[86:87]
	v_fmac_f64_e32 v[86:87], s[40:41], v[44:45]
	v_add_f64 v[44:45], v[46:47], v[52:53]
	v_fma_f64 v[42:43], s[46:47], v[36:37], v[40:41]
	v_fmac_f64_e32 v[40:41], s[34:35], v[36:37]
	v_mul_f64 v[46:47], v[38:39], s[20:21]
	v_add_f64 v[40:41], v[40:41], v[48:49]
	v_fma_f64 v[48:49], s[12:13], v[36:37], v[46:47]
	v_fmac_f64_e32 v[46:47], s[48:49], v[36:37]
	v_add_f64 v[42:43], v[42:43], v[50:51]
	v_add_f64 v[46:47], v[46:47], v[54:55]
	v_mul_f64 v[50:51], v[38:39], s[22:23]
	v_mul_f64 v[54:55], v[38:39], s[30:31]
	v_add_f64 v[48:49], v[48:49], v[62:63]
	v_fma_f64 v[52:53], s[58:59], v[36:37], v[50:51]
	v_fmac_f64_e32 v[50:51], s[14:15], v[36:37]
	v_fma_f64 v[62:63], s[28:29], v[36:37], v[54:55]
	v_add_f64 v[50:51], v[50:51], v[64:65]
	v_add_f64 v[64:65], v[62:63], v[76:77]
	v_mul_f64 v[62:63], v[38:39], s[16:17]
	v_add_f64 v[128:129], v[128:129], v[136:137]
	v_add_f64 v[52:53], v[52:53], v[66:67]
	v_fmac_f64_e32 v[54:55], s[56:57], v[36:37]
	v_fma_f64 v[66:67], s[50:51], v[36:37], v[62:63]
	v_fmac_f64_e32 v[62:63], s[6:7], v[36:37]
	v_add_f64 v[126:127], v[126:127], v[134:135]
	v_add_f64 v[132:133], v[132:133], v[140:141]
	;; [unrolled: 1-line block ×5, first 2 shown]
	v_mul_f64 v[62:63], v[38:39], s[42:43]
	v_add_f64 v[118:119], v[118:119], v[126:127]
	v_add_f64 v[124:125], v[124:125], v[132:133]
	;; [unrolled: 1-line block ×3, first 2 shown]
	v_fma_f64 v[76:77], s[52:53], v[36:37], v[62:63]
	v_fmac_f64_e32 v[62:63], s[40:41], v[36:37]
	v_add_f64 v[100:101], v[100:101], v[118:119]
	v_add_f64 v[116:117], v[116:117], v[124:125]
	;; [unrolled: 1-line block ×4, first 2 shown]
	v_mul_f64 v[62:63], v[38:39], s[18:19]
	v_add_f64 v[30:31], v[30:31], v[34:35]
	v_add_f64 v[92:93], v[92:93], v[100:101]
	;; [unrolled: 1-line block ×5, first 2 shown]
	v_fma_f64 v[80:81], s[8:9], v[36:37], v[62:63]
	v_fmac_f64_e32 v[62:63], s[54:55], v[36:37]
	v_mul_f64 v[38:39], v[38:39], s[26:27]
	v_add_f64 v[28:29], v[28:29], -v[32:33]
	v_mul_f64 v[32:33], v[30:31], s[42:43]
	v_add_f64 v[130:131], v[130:131], v[138:139]
	v_add_f64 v[84:85], v[84:85], v[92:93]
	;; [unrolled: 1-line block ×4, first 2 shown]
	v_fma_f64 v[62:63], s[44:45], v[36:37], v[38:39]
	v_fma_f64 v[34:35], s[52:53], v[28:29], v[32:33]
	v_fmac_f64_e32 v[32:33], s[40:41], v[28:29]
	v_add_f64 v[122:123], v[122:123], v[130:131]
	v_add_f64 v[76:77], v[76:77], v[84:85]
	;; [unrolled: 1-line block ×3, first 2 shown]
	v_fmac_f64_e32 v[38:39], s[24:25], v[36:37]
	v_add_f64 v[62:63], v[32:33], v[40:41]
	v_mul_f64 v[32:33], v[30:31], s[16:17]
	v_add_f64 v[108:109], v[108:109], v[122:123]
	v_add_f64 v[36:37], v[38:39], v[44:45]
	v_fma_f64 v[38:39], s[6:7], v[28:29], v[32:33]
	v_fmac_f64_e32 v[32:33], s[50:51], v[28:29]
	v_mul_f64 v[40:41], v[30:31], s[38:39]
	v_mul_f64 v[44:45], v[30:31], s[18:19]
	v_add_f64 v[96:97], v[96:97], v[108:109]
	v_add_f64 v[34:35], v[34:35], v[42:43]
	;; [unrolled: 1-line block ×4, first 2 shown]
	v_fma_f64 v[42:43], s[46:47], v[28:29], v[40:41]
	v_fmac_f64_e32 v[40:41], s[34:35], v[28:29]
	v_fma_f64 v[46:47], s[8:9], v[28:29], v[44:45]
	v_mul_f64 v[48:49], v[30:31], s[30:31]
	v_add_f64 v[88:89], v[88:89], v[96:97]
	v_add_f64 v[42:43], v[42:43], v[52:53]
	;; [unrolled: 1-line block ×4, first 2 shown]
	v_fmac_f64_e32 v[44:45], s[54:55], v[28:29]
	v_fma_f64 v[50:51], s[56:57], v[28:29], v[48:49]
	v_fmac_f64_e32 v[48:49], s[28:29], v[28:29]
	v_mul_f64 v[52:53], v[30:31], s[20:21]
	v_mul_f64 v[64:65], v[30:31], s[26:27]
	;; [unrolled: 1-line block ×3, first 2 shown]
	v_add_f64 v[80:81], v[80:81], v[88:89]
	v_add_f64 v[44:45], v[44:45], v[54:55]
	;; [unrolled: 1-line block ×4, first 2 shown]
	v_fma_f64 v[54:55], s[12:13], v[28:29], v[52:53]
	v_fmac_f64_e32 v[52:53], s[48:49], v[28:29]
	v_fma_f64 v[66:67], s[44:45], v[28:29], v[64:65]
	v_fma_f64 v[74:75], s[14:15], v[28:29], v[30:31]
	v_fmac_f64_e32 v[30:31], s[58:59], v[28:29]
	v_add_f64 v[54:55], v[54:55], v[76:77]
	v_add_f64 v[52:53], v[52:53], v[78:79]
	;; [unrolled: 1-line block ×3, first 2 shown]
	v_fmac_f64_e32 v[64:65], s[24:25], v[28:29]
	v_add_f64 v[74:75], v[74:75], v[84:85]
	v_add_f64 v[28:29], v[30:31], v[36:37]
	;; [unrolled: 1-line block ×3, first 2 shown]
	s_waitcnt lgkmcnt(0)
	s_barrier
	ds_write2_b64 v115, v[110:111], v[34:35] offset1:17
	ds_write2_b64 v115, v[38:39], v[42:43] offset0:34 offset1:51
	ds_write2_b64 v115, v[46:47], v[50:51] offset0:68 offset1:85
	;; [unrolled: 1-line block ×7, first 2 shown]
	ds_write_b64 v115, v[62:63] offset:2176
	s_waitcnt lgkmcnt(0)
	s_barrier
	ds_read2_b64 v[36:39], v114 offset0:110 offset1:161
	ds_read2_b64 v[28:31], v57 offset0:34 offset1:68
	;; [unrolled: 1-line block ×7, first 2 shown]
	ds_read_b64 v[66:67], v71
	ds_read_b64 v[74:75], v57 offset:4216
                                        ; implicit-def: $vgpr64_vgpr65
	s_and_saveexec_b64 s[2:3], vcc
	s_cbranch_execz .LBB0_16
; %bb.15:
	ds_read_b64 v[62:63], v57 offset:2176
	ds_read_b64 v[64:65], v57 offset:4488
	v_add_u32_e32 v56, 0x110, v70
.LBB0_16:
	s_or_b64 exec, exec, s[2:3]
	s_and_saveexec_b64 s[2:3], s[0:1]
	s_cbranch_execz .LBB0_19
; %bb.17:
	v_mov_b32_e32 v71, 0
	v_lshl_add_u64 v[76:77], v[70:71], 4, s[4:5]
	v_add_co_u32_e32 v114, vcc, 0x1000, v76
	v_mul_lo_u32 v57, s37, v72
	s_nop 0
	v_addc_co_u32_e32 v115, vcc, 0, v77, vcc
	global_load_dwordx4 v[76:79], v[114:115], off offset:4064
	global_load_dwordx4 v[80:83], v[114:115], off offset:3520
	;; [unrolled: 1-line block ×8, first 2 shown]
	v_mad_u64_u32 v[114:115], s[0:1], s36, v72, 0
	v_mul_lo_u32 v70, s36, v73
	s_mov_b32 s0, 0xe2c4a689
	v_add3_u32 v115, v115, v70, v57
	v_mul_hi_u32 v57, v112, s0
	v_lshrrev_b32_e32 v57, 8, v57
	s_movk_i32 s1, 0x1000
	s_movk_i32 s2, 0x121
	s_waitcnt vmcnt(7)
	v_mul_f64 v[72:73], v[106:107], v[78:79]
	s_waitcnt vmcnt(6)
	v_mul_f64 v[116:117], v[26:27], v[82:83]
	s_waitcnt lgkmcnt(2)
	v_mul_f64 v[82:83], v[54:55], v[82:83]
	s_waitcnt vmcnt(5)
	v_mul_f64 v[118:119], v[24:25], v[86:87]
	s_waitcnt vmcnt(4)
	v_mul_f64 v[120:121], v[22:23], v[90:91]
	v_mul_f64 v[90:91], v[50:51], v[90:91]
	s_waitcnt vmcnt(1)
	v_mul_f64 v[126:127], v[16:17], v[102:103]
	v_mul_f64 v[102:103], v[44:45], v[102:103]
	;; [unrolled: 1-line block ×5, first 2 shown]
	s_waitcnt lgkmcnt(0)
	v_fma_f64 v[72:73], v[74:75], v[76:77], -v[72:73]
	v_fmac_f64_e32 v[102:103], v[16:17], v[100:101]
	v_mul_f64 v[86:87], v[52:53], v[86:87]
	v_mul_f64 v[94:95], v[48:49], v[94:95]
	v_fma_f64 v[54:55], v[54:55], v[80:81], -v[116:117]
	v_fmac_f64_e32 v[82:83], v[26:27], v[80:81]
	v_fma_f64 v[26:27], v[52:53], v[84:85], -v[118:119]
	v_fma_f64 v[50:51], v[50:51], v[88:89], -v[120:121]
	v_fmac_f64_e32 v[90:91], v[22:23], v[88:89]
	v_fma_f64 v[48:49], v[48:49], v[92:93], -v[122:123]
	v_fma_f64 v[52:53], v[46:47], v[96:97], -v[124:125]
	v_fmac_f64_e32 v[98:99], v[18:19], v[96:97]
	v_add_f64 v[18:19], v[36:37], -v[72:73]
	v_add_f64 v[72:73], v[0:1], -v[102:103]
	v_mul_f64 v[78:79], v[74:75], v[78:79]
	s_waitcnt vmcnt(0)
	v_mul_f64 v[128:129], v[10:11], v[110:111]
	v_mul_f64 v[110:111], v[38:39], v[110:111]
	v_fmac_f64_e32 v[94:95], v[20:21], v[92:93]
	v_fma_f64 v[74:75], v[44:45], v[100:101], -v[126:127]
	v_add_f64 v[22:23], v[42:43], -v[54:55]
	v_add_f64 v[20:21], v[14:15], -v[82:83]
	;; [unrolled: 1-line block ×8, first 2 shown]
	v_fma_f64 v[80:81], v[0:1], 2.0, -v[72:73]
	v_mul_u32_u24_e32 v0, 0x121, v57
	v_fmac_f64_e32 v[78:79], v[106:107], v[76:77]
	v_fma_f64 v[38:39], v[38:39], v[108:109], -v[128:129]
	v_fmac_f64_e32 v[110:111], v[10:11], v[108:109]
	v_fma_f64 v[10:11], v[36:37], 2.0, -v[18:19]
	v_fma_f64 v[36:37], v[14:15], 2.0, -v[20:21]
	;; [unrolled: 1-line block ×7, first 2 shown]
	v_sub_u32_e32 v2, v112, v0
	v_lshl_add_u64 v[0:1], v[114:115], 4, s[10:11]
	v_fmac_f64_e32 v[86:87], v[24:25], v[84:85]
	v_add_f64 v[16:17], v[8:9], -v[78:79]
	v_add_f64 v[78:79], v[66:67], -v[38:39]
	v_add_f64 v[76:77], v[104:105], -v[110:111]
	v_lshl_add_u64 v[0:1], v[68:69], 4, v[0:1]
	v_lshlrev_b32_e32 v70, 4, v2
	v_add_f64 v[24:25], v[12:13], -v[86:87]
	v_fma_f64 v[86:87], v[66:67], 2.0, -v[78:79]
	v_fma_f64 v[84:85], v[104:105], 2.0, -v[76:77]
	v_lshl_add_u64 v[2:3], v[0:1], 0, v[70:71]
	global_store_dwordx4 v[2:3], v[84:87], off
	v_add_co_u32_e32 v2, vcc, s1, v2
	v_add_f64 v[74:75], v[28:29], -v[74:75]
	s_nop 0
	v_addc_co_u32_e32 v3, vcc, 0, v3, vcc
	global_store_dwordx4 v[2:3], v[76:79], off offset:528
	v_add_u32_e32 v2, 34, v112
	v_mul_hi_u32 v3, v2, s0
	v_lshrrev_b32_e32 v3, 8, v3
	v_fma_f64 v[82:83], v[28:29], 2.0, -v[74:75]
	v_mul_u32_u24_e32 v28, 0x121, v3
	v_sub_u32_e32 v2, v2, v28
	s_movk_i32 s1, 0x242
	v_mad_u32_u24 v70, v3, s1, v2
	v_lshl_add_u64 v[2:3], v[70:71], 4, v[0:1]
	v_add_u32_e32 v70, 0x121, v70
	global_store_dwordx4 v[2:3], v[80:83], off
	v_lshl_add_u64 v[2:3], v[70:71], 4, v[0:1]
	global_store_dwordx4 v[2:3], v[72:75], off
	v_add_u32_e32 v2, 0x44, v112
	v_mul_hi_u32 v3, v2, s0
	v_lshrrev_b32_e32 v3, 8, v3
	v_mul_u32_u24_e32 v28, 0x121, v3
	v_sub_u32_e32 v2, v2, v28
	v_mad_u32_u24 v70, v3, s1, v2
	v_lshl_add_u64 v[2:3], v[70:71], 4, v[0:1]
	v_add_u32_e32 v70, 0x121, v70
	global_store_dwordx4 v[2:3], v[30:33], off
	v_lshl_add_u64 v[2:3], v[70:71], 4, v[0:1]
	global_store_dwordx4 v[2:3], v[52:55], off
	v_add_u32_e32 v2, 0x66, v112
	v_mul_hi_u32 v3, v2, s0
	v_lshrrev_b32_e32 v3, 8, v3
	v_mul_u32_u24_e32 v28, 0x121, v3
	v_sub_u32_e32 v2, v2, v28
	v_add_f64 v[48:49], v[4:5], -v[94:95]
	v_mad_u32_u24 v70, v3, s1, v2
	v_fma_f64 v[4:5], v[4:5], 2.0, -v[48:49]
	v_lshl_add_u64 v[2:3], v[70:71], 4, v[0:1]
	v_add_u32_e32 v70, 0x121, v70
	global_store_dwordx4 v[2:3], v[4:7], off
	v_lshl_add_u64 v[2:3], v[70:71], 4, v[0:1]
	global_store_dwordx4 v[2:3], v[48:51], off
	v_add_u32_e32 v2, 0x88, v112
	v_mul_hi_u32 v3, v2, s0
	v_lshrrev_b32_e32 v3, 8, v3
	v_mul_u32_u24_e32 v4, 0x121, v3
	v_sub_u32_e32 v2, v2, v4
	v_mad_u32_u24 v70, v3, s1, v2
	v_fma_f64 v[38:39], v[42:43], 2.0, -v[22:23]
	v_fma_f64 v[42:43], v[34:35], 2.0, -v[46:47]
	v_lshl_add_u64 v[2:3], v[70:71], 4, v[0:1]
	v_add_u32_e32 v70, 0x121, v70
	global_store_dwordx4 v[2:3], v[40:43], off
	v_lshl_add_u64 v[2:3], v[70:71], 4, v[0:1]
	global_store_dwordx4 v[2:3], v[44:47], off
	v_add_u32_e32 v2, 0xaa, v112
	v_mul_hi_u32 v3, v2, s0
	v_lshrrev_b32_e32 v3, 8, v3
	v_mul_u32_u24_e32 v4, 0x121, v3
	v_sub_u32_e32 v2, v2, v4
	v_mad_u32_u24 v70, v3, s1, v2
	v_fma_f64 v[12:13], v[12:13], 2.0, -v[24:25]
	v_lshl_add_u64 v[2:3], v[70:71], 4, v[0:1]
	v_add_u32_e32 v70, 0x121, v70
	global_store_dwordx4 v[2:3], v[12:15], off
	v_lshl_add_u64 v[2:3], v[70:71], 4, v[0:1]
	global_store_dwordx4 v[2:3], v[24:27], off
	v_add_u32_e32 v2, 0xcc, v112
	v_mul_hi_u32 v3, v2, s0
	v_lshrrev_b32_e32 v3, 8, v3
	v_mul_u32_u24_e32 v4, 0x121, v3
	v_sub_u32_e32 v2, v2, v4
	v_mad_u32_u24 v70, v3, s1, v2
	v_lshl_add_u64 v[2:3], v[70:71], 4, v[0:1]
	v_add_u32_e32 v70, 0x121, v70
	global_store_dwordx4 v[2:3], v[36:39], off
	v_lshl_add_u64 v[2:3], v[70:71], 4, v[0:1]
	global_store_dwordx4 v[2:3], v[20:23], off
	v_add_u32_e32 v2, 0xee, v112
	v_mul_hi_u32 v3, v2, s0
	v_lshrrev_b32_e32 v3, 8, v3
	v_mul_u32_u24_e32 v4, 0x121, v3
	v_sub_u32_e32 v2, v2, v4
	v_mad_u32_u24 v70, v3, s1, v2
	v_fma_f64 v[8:9], v[8:9], 2.0, -v[16:17]
	v_lshl_add_u64 v[2:3], v[70:71], 4, v[0:1]
	v_add_u32_e32 v70, 0x121, v70
	global_store_dwordx4 v[2:3], v[8:11], off
	v_lshl_add_u64 v[2:3], v[70:71], 4, v[0:1]
	global_store_dwordx4 v[2:3], v[16:19], off
	v_add_u32_e32 v2, 0x110, v112
	v_cmp_gt_u32_e32 vcc, s2, v2
	s_and_b64 exec, exec, vcc
	s_cbranch_execz .LBB0_19
; %bb.18:
	v_mov_b32_e32 v57, v71
	v_lshl_add_u64 v[4:5], v[56:57], 4, s[4:5]
	v_add_co_u32_e32 v4, vcc, 0x1000, v4
	v_add_u32_e32 v70, 0x231, v112
	s_nop 0
	v_addc_co_u32_e32 v5, vcc, 0, v5, vcc
	global_load_dwordx4 v[4:7], v[4:5], off offset:256
	v_mov_b32_e32 v3, v71
	v_lshl_add_u64 v[8:9], v[70:71], 4, v[0:1]
	v_lshl_add_u64 v[10:11], v[2:3], 4, v[0:1]
	s_waitcnt vmcnt(0)
	v_mul_f64 v[0:1], v[64:65], v[6:7]
	v_mul_f64 v[2:3], v[60:61], v[6:7]
	v_fmac_f64_e32 v[0:1], v[60:61], v[4:5]
	v_fma_f64 v[2:3], v[64:65], v[4:5], -v[2:3]
	v_add_f64 v[0:1], v[58:59], -v[0:1]
	v_add_f64 v[2:3], v[62:63], -v[2:3]
	v_fma_f64 v[4:5], v[58:59], 2.0, -v[0:1]
	v_fma_f64 v[6:7], v[62:63], 2.0, -v[2:3]
	global_store_dwordx4 v[10:11], v[4:7], off
	global_store_dwordx4 v[8:9], v[0:3], off
.LBB0_19:
	s_endpgm
	.section	.rodata,"a",@progbits
	.p2align	6, 0x0
	.amdhsa_kernel fft_rtc_back_len578_factors_17_17_2_wgs_238_tpt_34_halfLds_dp_op_CI_CI_unitstride_sbrr_dirReg
		.amdhsa_group_segment_fixed_size 0
		.amdhsa_private_segment_fixed_size 0
		.amdhsa_kernarg_size 104
		.amdhsa_user_sgpr_count 2
		.amdhsa_user_sgpr_dispatch_ptr 0
		.amdhsa_user_sgpr_queue_ptr 0
		.amdhsa_user_sgpr_kernarg_segment_ptr 1
		.amdhsa_user_sgpr_dispatch_id 0
		.amdhsa_user_sgpr_kernarg_preload_length 0
		.amdhsa_user_sgpr_kernarg_preload_offset 0
		.amdhsa_user_sgpr_private_segment_size 0
		.amdhsa_uses_dynamic_stack 0
		.amdhsa_enable_private_segment 0
		.amdhsa_system_sgpr_workgroup_id_x 1
		.amdhsa_system_sgpr_workgroup_id_y 0
		.amdhsa_system_sgpr_workgroup_id_z 0
		.amdhsa_system_sgpr_workgroup_info 0
		.amdhsa_system_vgpr_workitem_id 0
		.amdhsa_next_free_vgpr 144
		.amdhsa_next_free_sgpr 60
		.amdhsa_accum_offset 144
		.amdhsa_reserve_vcc 1
		.amdhsa_float_round_mode_32 0
		.amdhsa_float_round_mode_16_64 0
		.amdhsa_float_denorm_mode_32 3
		.amdhsa_float_denorm_mode_16_64 3
		.amdhsa_dx10_clamp 1
		.amdhsa_ieee_mode 1
		.amdhsa_fp16_overflow 0
		.amdhsa_tg_split 0
		.amdhsa_exception_fp_ieee_invalid_op 0
		.amdhsa_exception_fp_denorm_src 0
		.amdhsa_exception_fp_ieee_div_zero 0
		.amdhsa_exception_fp_ieee_overflow 0
		.amdhsa_exception_fp_ieee_underflow 0
		.amdhsa_exception_fp_ieee_inexact 0
		.amdhsa_exception_int_div_zero 0
	.end_amdhsa_kernel
	.text
.Lfunc_end0:
	.size	fft_rtc_back_len578_factors_17_17_2_wgs_238_tpt_34_halfLds_dp_op_CI_CI_unitstride_sbrr_dirReg, .Lfunc_end0-fft_rtc_back_len578_factors_17_17_2_wgs_238_tpt_34_halfLds_dp_op_CI_CI_unitstride_sbrr_dirReg
                                        ; -- End function
	.section	.AMDGPU.csdata,"",@progbits
; Kernel info:
; codeLenInByte = 15676
; NumSgprs: 66
; NumVgprs: 144
; NumAgprs: 0
; TotalNumVgprs: 144
; ScratchSize: 0
; MemoryBound: 1
; FloatMode: 240
; IeeeMode: 1
; LDSByteSize: 0 bytes/workgroup (compile time only)
; SGPRBlocks: 8
; VGPRBlocks: 17
; NumSGPRsForWavesPerEU: 66
; NumVGPRsForWavesPerEU: 144
; AccumOffset: 144
; Occupancy: 3
; WaveLimiterHint : 1
; COMPUTE_PGM_RSRC2:SCRATCH_EN: 0
; COMPUTE_PGM_RSRC2:USER_SGPR: 2
; COMPUTE_PGM_RSRC2:TRAP_HANDLER: 0
; COMPUTE_PGM_RSRC2:TGID_X_EN: 1
; COMPUTE_PGM_RSRC2:TGID_Y_EN: 0
; COMPUTE_PGM_RSRC2:TGID_Z_EN: 0
; COMPUTE_PGM_RSRC2:TIDIG_COMP_CNT: 0
; COMPUTE_PGM_RSRC3_GFX90A:ACCUM_OFFSET: 35
; COMPUTE_PGM_RSRC3_GFX90A:TG_SPLIT: 0
	.text
	.p2alignl 6, 3212836864
	.fill 256, 4, 3212836864
	.type	__hip_cuid_c681d3837d4a317a,@object ; @__hip_cuid_c681d3837d4a317a
	.section	.bss,"aw",@nobits
	.globl	__hip_cuid_c681d3837d4a317a
__hip_cuid_c681d3837d4a317a:
	.byte	0                               ; 0x0
	.size	__hip_cuid_c681d3837d4a317a, 1

	.ident	"AMD clang version 19.0.0git (https://github.com/RadeonOpenCompute/llvm-project roc-6.4.0 25133 c7fe45cf4b819c5991fe208aaa96edf142730f1d)"
	.section	".note.GNU-stack","",@progbits
	.addrsig
	.addrsig_sym __hip_cuid_c681d3837d4a317a
	.amdgpu_metadata
---
amdhsa.kernels:
  - .agpr_count:     0
    .args:
      - .actual_access:  read_only
        .address_space:  global
        .offset:         0
        .size:           8
        .value_kind:     global_buffer
      - .offset:         8
        .size:           8
        .value_kind:     by_value
      - .actual_access:  read_only
        .address_space:  global
        .offset:         16
        .size:           8
        .value_kind:     global_buffer
      - .actual_access:  read_only
        .address_space:  global
        .offset:         24
        .size:           8
        .value_kind:     global_buffer
      - .actual_access:  read_only
        .address_space:  global
        .offset:         32
        .size:           8
        .value_kind:     global_buffer
      - .offset:         40
        .size:           8
        .value_kind:     by_value
      - .actual_access:  read_only
        .address_space:  global
        .offset:         48
        .size:           8
        .value_kind:     global_buffer
      - .actual_access:  read_only
        .address_space:  global
        .offset:         56
        .size:           8
        .value_kind:     global_buffer
      - .offset:         64
        .size:           4
        .value_kind:     by_value
      - .actual_access:  read_only
        .address_space:  global
        .offset:         72
        .size:           8
        .value_kind:     global_buffer
      - .actual_access:  read_only
        .address_space:  global
        .offset:         80
        .size:           8
        .value_kind:     global_buffer
      - .actual_access:  read_only
        .address_space:  global
        .offset:         88
        .size:           8
        .value_kind:     global_buffer
      - .actual_access:  write_only
        .address_space:  global
        .offset:         96
        .size:           8
        .value_kind:     global_buffer
    .group_segment_fixed_size: 0
    .kernarg_segment_align: 8
    .kernarg_segment_size: 104
    .language:       OpenCL C
    .language_version:
      - 2
      - 0
    .max_flat_workgroup_size: 238
    .name:           fft_rtc_back_len578_factors_17_17_2_wgs_238_tpt_34_halfLds_dp_op_CI_CI_unitstride_sbrr_dirReg
    .private_segment_fixed_size: 0
    .sgpr_count:     66
    .sgpr_spill_count: 0
    .symbol:         fft_rtc_back_len578_factors_17_17_2_wgs_238_tpt_34_halfLds_dp_op_CI_CI_unitstride_sbrr_dirReg.kd
    .uniform_work_group_size: 1
    .uses_dynamic_stack: false
    .vgpr_count:     144
    .vgpr_spill_count: 0
    .wavefront_size: 64
amdhsa.target:   amdgcn-amd-amdhsa--gfx950
amdhsa.version:
  - 1
  - 2
...

	.end_amdgpu_metadata
